;; amdgpu-corpus repo=zjin-lcf/HeCBench kind=compiled arch=gfx1100 opt=O3
	.text
	.amdgcn_target "amdgcn-amd-amdhsa--gfx1100"
	.amdhsa_code_object_version 6
	.section	.text._Z32nll_loss_forward_reduce2d_kernelIffiLi64EEvPT_S1_PKS0_PKT1_S3_blll,"axG",@progbits,_Z32nll_loss_forward_reduce2d_kernelIffiLi64EEvPT_S1_PKS0_PKT1_S3_blll,comdat
	.protected	_Z32nll_loss_forward_reduce2d_kernelIffiLi64EEvPT_S1_PKS0_PKT1_S3_blll ; -- Begin function _Z32nll_loss_forward_reduce2d_kernelIffiLi64EEvPT_S1_PKS0_PKT1_S3_blll
	.globl	_Z32nll_loss_forward_reduce2d_kernelIffiLi64EEvPT_S1_PKS0_PKT1_S3_blll
	.p2align	8
	.type	_Z32nll_loss_forward_reduce2d_kernelIffiLi64EEvPT_S1_PKS0_PKT1_S3_blll,@function
_Z32nll_loss_forward_reduce2d_kernelIffiLi64EEvPT_S1_PKS0_PKT1_S3_blll: ; @_Z32nll_loss_forward_reduce2d_kernelIffiLi64EEvPT_S1_PKS0_PKT1_S3_blll
; %bb.0:
	s_clause 0x1
	s_load_b128 s[8:11], s[0:1], 0x30
	s_load_b128 s[4:7], s[0:1], 0x0
	v_dual_mov_b32 v1, 0 :: v_dual_lshlrev_b32 v8, 2, v0
	s_mov_b32 s3, exec_lo
	ds_store_2addr_stride64_b32 v8, v1, v1 offset1:1
	s_waitcnt lgkmcnt(0)
	v_cmpx_gt_i64_e64 s[8:9], v[0:1]
	s_cbranch_execz .LBB0_8
; %bb.1:
	v_mad_u64_u32 v[2:3], null, s10, v0, 0
	s_clause 0x2
	s_load_b64 s[12:13], s[0:1], 0x20
	s_load_b128 s[20:23], s[0:1], 0x10
	s_load_b64 s[14:15], s[0:1], 0x40
	v_dual_mov_b32 v10, v1 :: v_dual_add_nc_u32 v9, 0x100, v8
	s_mov_b32 s17, 0
	v_lshlrev_b32_e32 v6, 2, v0
	v_mad_u64_u32 v[4:5], null, s11, v0, v[3:4]
	s_delay_alu instid0(VALU_DEP_1) | instskip(SKIP_2) | instid1(VALU_DEP_1)
	v_mov_b32_e32 v3, v4
	s_waitcnt lgkmcnt(0)
	s_cmp_lg_u64 s[12:13], 0
	v_lshlrev_b64 v[4:5], 2, v[2:3]
	v_add_co_u32 v2, s2, s22, v6
	s_delay_alu instid0(VALU_DEP_1) | instskip(SKIP_1) | instid1(VALU_DEP_3)
	v_add_co_ci_u32_e64 v3, null, s23, 0, s2
	s_cselect_b32 s16, -1, 0
	v_add_co_u32 v11, vcc_lo, s20, v4
	s_delay_alu instid0(VALU_DEP_4)
	v_add_co_ci_u32_e32 v12, vcc_lo, s21, v5, vcc_lo
	v_dual_mov_b32 v5, v1 :: v_dual_mov_b32 v4, v0
	s_lshl_b64 s[10:11], s[10:11], 8
	s_set_inst_prefetch_distance 0x1
	s_branch .LBB0_5
	.p2align	6
.LBB0_2:                                ;   in Loop: Header=BB0_5 Depth=1
	s_delay_alu instid0(VALU_DEP_1) | instskip(NEXT) | instid1(VALU_DEP_2)
	v_add_co_u32 v13, vcc_lo, s12, v6
	v_add_co_ci_u32_e32 v14, vcc_lo, s13, v7, vcc_lo
	global_load_b32 v13, v[13:14], off
.LBB0_3:                                ;   in Loop: Header=BB0_5 Depth=1
	s_delay_alu instid0(VALU_DEP_2)
	v_add_co_u32 v6, vcc_lo, v11, v6
	v_add_co_ci_u32_e32 v7, vcc_lo, v12, v7, vcc_lo
	s_waitcnt vmcnt(0)
	v_add_f32_e32 v1, v13, v1
	global_load_b32 v6, v[6:7], off
	s_waitcnt vmcnt(0)
	v_fma_f32 v10, -v13, v6, v10
	ds_store_b32 v9, v10
	ds_store_b32 v8, v1
.LBB0_4:                                ;   in Loop: Header=BB0_5 Depth=1
	s_or_b32 exec_lo, exec_lo, s2
	v_add_co_u32 v4, vcc_lo, v4, 64
	v_add_co_ci_u32_e32 v5, vcc_lo, 0, v5, vcc_lo
	v_add_co_u32 v11, vcc_lo, v11, s10
	v_add_co_ci_u32_e32 v12, vcc_lo, s11, v12, vcc_lo
	s_delay_alu instid0(VALU_DEP_3) | instskip(SKIP_1) | instid1(VALU_DEP_1)
	v_cmp_le_i64_e32 vcc_lo, s[8:9], v[4:5]
	v_add_co_u32 v2, s2, 0x100, v2
	v_add_co_ci_u32_e64 v3, s2, 0, v3, s2
	s_or_b32 s17, vcc_lo, s17
	s_delay_alu instid0(SALU_CYCLE_1)
	s_and_not1_b32 exec_lo, exec_lo, s17
	s_cbranch_execz .LBB0_8
.LBB0_5:                                ; =>This Inner Loop Header: Depth=1
	global_load_b32 v6, v[2:3], off
	s_mov_b32 s2, exec_lo
	s_waitcnt vmcnt(0)
	v_ashrrev_i32_e32 v7, 31, v6
	s_delay_alu instid0(VALU_DEP_1)
	v_cmpx_ne_u64_e64 s[14:15], v[6:7]
	s_cbranch_execz .LBB0_4
; %bb.6:                                ;   in Loop: Header=BB0_5 Depth=1
	v_lshlrev_b64 v[6:7], 2, v[6:7]
	s_and_not1_b32 vcc_lo, exec_lo, s16
	s_cbranch_vccz .LBB0_2
; %bb.7:                                ;   in Loop: Header=BB0_5 Depth=1
	v_mov_b32_e32 v13, 1.0
	s_branch .LBB0_3
.LBB0_8:
	s_set_inst_prefetch_distance 0x2
	s_or_b32 exec_lo, exec_lo, s3
; %bb.9:
	s_waitcnt lgkmcnt(0)
	s_barrier
	buffer_gl0_inv
	s_mov_b32 s2, exec_lo
	v_cmpx_eq_u32_e32 0, v0
	s_cbranch_execz .LBB0_11
; %bb.10:
	v_mov_b32_e32 v16, 0
	s_load_b32 s0, s[0:1], 0x28
	ds_load_b128 v[0:3], v16 offset:256
	ds_load_b128 v[4:7], v16
	ds_load_b128 v[8:11], v16 offset:272
	s_waitcnt lgkmcnt(0)
	s_bitcmp1_b32 s0, 0
	v_add_f32_e32 v0, 0, v0
	v_add_f32_e32 v4, 0, v4
	s_delay_alu instid0(VALU_DEP_2) | instskip(NEXT) | instid1(VALU_DEP_2)
	v_add_f32_e32 v0, v0, v1
	v_add_f32_e32 v1, v4, v5
	ds_load_b128 v[12:15], v16 offset:16
	v_add_f32_e32 v0, v0, v2
	s_delay_alu instid0(VALU_DEP_1) | instskip(NEXT) | instid1(VALU_DEP_1)
	v_dual_add_f32 v1, v1, v6 :: v_dual_add_f32 v0, v0, v3
	v_dual_add_f32 v17, v1, v7 :: v_dual_add_f32 v8, v0, v8
	ds_load_b128 v[0:3], v16 offset:288
	ds_load_b128 v[4:7], v16 offset:32
	v_add_f32_e32 v8, v8, v9
	s_delay_alu instid0(VALU_DEP_1) | instskip(SKIP_2) | instid1(VALU_DEP_1)
	v_add_f32_e32 v8, v8, v10
	s_waitcnt lgkmcnt(2)
	v_add_f32_e32 v12, v17, v12
	v_add_f32_e32 v9, v12, v13
	s_delay_alu instid0(VALU_DEP_3) | instskip(SKIP_1) | instid1(VALU_DEP_1)
	v_add_f32_e32 v13, v8, v11
	s_waitcnt lgkmcnt(1)
	v_add_f32_e32 v0, v13, v0
	s_delay_alu instid0(VALU_DEP_3)
	v_add_f32_e32 v12, v9, v14
	ds_load_b128 v[8:11], v16 offset:304
	v_add_f32_e32 v0, v0, v1
	v_add_f32_e32 v17, v12, v15
	ds_load_b128 v[12:15], v16 offset:48
	v_add_f32_e32 v0, v0, v2
	s_waitcnt lgkmcnt(2)
	v_add_f32_e32 v4, v17, v4
	s_delay_alu instid0(VALU_DEP_2) | instskip(NEXT) | instid1(VALU_DEP_2)
	v_add_f32_e32 v0, v0, v3
	v_add_f32_e32 v1, v4, v5
	s_waitcnt lgkmcnt(1)
	s_delay_alu instid0(VALU_DEP_1) | instskip(NEXT) | instid1(VALU_DEP_1)
	v_dual_add_f32 v1, v1, v6 :: v_dual_add_f32 v8, v0, v8
	v_dual_add_f32 v17, v1, v7 :: v_dual_add_f32 v8, v8, v9
	ds_load_b128 v[0:3], v16 offset:320
	ds_load_b128 v[4:7], v16 offset:64
	v_add_f32_e32 v8, v8, v10
	s_waitcnt lgkmcnt(2)
	v_add_f32_e32 v12, v17, v12
	s_delay_alu instid0(VALU_DEP_1) | instskip(NEXT) | instid1(VALU_DEP_1)
	v_add_f32_e32 v9, v12, v13
	v_dual_add_f32 v13, v8, v11 :: v_dual_add_f32 v12, v9, v14
	ds_load_b128 v[8:11], v16 offset:336
	s_waitcnt lgkmcnt(2)
	v_dual_add_f32 v0, v13, v0 :: v_dual_add_f32 v17, v12, v15
	ds_load_b128 v[12:15], v16 offset:80
	v_add_f32_e32 v0, v0, v1
	s_waitcnt lgkmcnt(2)
	v_add_f32_e32 v4, v17, v4
	s_delay_alu instid0(VALU_DEP_2) | instskip(NEXT) | instid1(VALU_DEP_2)
	v_add_f32_e32 v0, v0, v2
	v_add_f32_e32 v1, v4, v5
	s_delay_alu instid0(VALU_DEP_1) | instskip(SKIP_1) | instid1(VALU_DEP_1)
	v_dual_add_f32 v0, v0, v3 :: v_dual_add_f32 v1, v1, v6
	s_waitcnt lgkmcnt(1)
	v_dual_add_f32 v8, v0, v8 :: v_dual_add_f32 v17, v1, v7
	ds_load_b128 v[0:3], v16 offset:352
	ds_load_b128 v[4:7], v16 offset:96
	v_add_f32_e32 v8, v8, v9
	s_waitcnt lgkmcnt(2)
	v_add_f32_e32 v12, v17, v12
	s_delay_alu instid0(VALU_DEP_2) | instskip(NEXT) | instid1(VALU_DEP_2)
	v_add_f32_e32 v8, v8, v10
	v_add_f32_e32 v9, v12, v13
	s_delay_alu instid0(VALU_DEP_1)
	v_dual_add_f32 v13, v8, v11 :: v_dual_add_f32 v12, v9, v14
	ds_load_b128 v[8:11], v16 offset:368
	s_waitcnt lgkmcnt(2)
	v_dual_add_f32 v17, v12, v15 :: v_dual_add_f32 v0, v13, v0
	ds_load_b128 v[12:15], v16 offset:112
	s_waitcnt lgkmcnt(2)
	v_add_f32_e32 v4, v17, v4
	v_add_f32_e32 v0, v0, v1
	s_delay_alu instid0(VALU_DEP_2) | instskip(NEXT) | instid1(VALU_DEP_2)
	v_add_f32_e32 v1, v4, v5
	v_add_f32_e32 v0, v0, v2
	s_delay_alu instid0(VALU_DEP_1) | instskip(SKIP_1) | instid1(VALU_DEP_1)
	v_dual_add_f32 v1, v1, v6 :: v_dual_add_f32 v0, v0, v3
	s_waitcnt lgkmcnt(1)
	v_dual_add_f32 v17, v1, v7 :: v_dual_add_f32 v8, v0, v8
	ds_load_b128 v[0:3], v16 offset:384
	ds_load_b128 v[4:7], v16 offset:128
	s_waitcnt lgkmcnt(2)
	v_add_f32_e32 v12, v17, v12
	v_add_f32_e32 v8, v8, v9
	s_delay_alu instid0(VALU_DEP_2) | instskip(NEXT) | instid1(VALU_DEP_2)
	v_add_f32_e32 v9, v12, v13
	v_add_f32_e32 v8, v8, v10
	s_delay_alu instid0(VALU_DEP_1)
	v_dual_add_f32 v12, v9, v14 :: v_dual_add_f32 v13, v8, v11
	ds_load_b128 v[8:11], v16 offset:400
	s_waitcnt lgkmcnt(2)
	v_dual_add_f32 v17, v12, v15 :: v_dual_add_f32 v0, v13, v0
	ds_load_b128 v[12:15], v16 offset:144
	s_waitcnt lgkmcnt(2)
	v_add_f32_e32 v4, v17, v4
	v_add_f32_e32 v0, v0, v1
	s_delay_alu instid0(VALU_DEP_2) | instskip(NEXT) | instid1(VALU_DEP_2)
	v_add_f32_e32 v1, v4, v5
	v_add_f32_e32 v0, v0, v2
	s_delay_alu instid0(VALU_DEP_1) | instskip(SKIP_1) | instid1(VALU_DEP_1)
	v_dual_add_f32 v1, v1, v6 :: v_dual_add_f32 v0, v0, v3
	s_waitcnt lgkmcnt(1)
	v_dual_add_f32 v17, v1, v7 :: v_dual_add_f32 v8, v0, v8
	ds_load_b128 v[0:3], v16 offset:416
	ds_load_b128 v[4:7], v16 offset:160
	s_waitcnt lgkmcnt(2)
	v_add_f32_e32 v12, v17, v12
	v_add_f32_e32 v8, v8, v9
	s_delay_alu instid0(VALU_DEP_2) | instskip(NEXT) | instid1(VALU_DEP_2)
	v_add_f32_e32 v9, v12, v13
	v_add_f32_e32 v8, v8, v10
	s_delay_alu instid0(VALU_DEP_1) | instskip(NEXT) | instid1(VALU_DEP_1)
	v_dual_add_f32 v9, v9, v14 :: v_dual_add_f32 v12, v8, v11
	v_add_f32_e32 v17, v9, v15
	ds_load_b128 v[8:11], v16 offset:432
	s_waitcnt lgkmcnt(2)
	v_add_f32_e32 v0, v12, v0
	ds_load_b128 v[12:15], v16 offset:176
	s_waitcnt lgkmcnt(2)
	v_add_f32_e32 v4, v17, v4
	v_add_f32_e32 v0, v0, v1
	s_delay_alu instid0(VALU_DEP_2) | instskip(NEXT) | instid1(VALU_DEP_2)
	v_add_f32_e32 v1, v4, v5
	v_add_f32_e32 v0, v0, v2
	s_delay_alu instid0(VALU_DEP_1) | instskip(SKIP_1) | instid1(VALU_DEP_1)
	v_dual_add_f32 v1, v1, v6 :: v_dual_add_f32 v0, v0, v3
	s_waitcnt lgkmcnt(1)
	v_dual_add_f32 v17, v1, v7 :: v_dual_add_f32 v8, v0, v8
	ds_load_b128 v[0:3], v16 offset:448
	ds_load_b128 v[4:7], v16 offset:192
	s_waitcnt lgkmcnt(2)
	v_add_f32_e32 v12, v17, v12
	v_add_f32_e32 v8, v8, v9
	s_delay_alu instid0(VALU_DEP_2) | instskip(NEXT) | instid1(VALU_DEP_2)
	v_add_f32_e32 v9, v12, v13
	v_add_f32_e32 v8, v8, v10
	s_delay_alu instid0(VALU_DEP_1) | instskip(NEXT) | instid1(VALU_DEP_1)
	v_dual_add_f32 v9, v9, v14 :: v_dual_add_f32 v12, v8, v11
	v_add_f32_e32 v17, v9, v15
	ds_load_b128 v[8:11], v16 offset:464
	s_waitcnt lgkmcnt(2)
	v_add_f32_e32 v0, v12, v0
	ds_load_b128 v[12:15], v16 offset:208
	s_waitcnt lgkmcnt(2)
	v_add_f32_e32 v4, v17, v4
	v_add_f32_e32 v0, v0, v1
	s_delay_alu instid0(VALU_DEP_2) | instskip(NEXT) | instid1(VALU_DEP_2)
	v_add_f32_e32 v1, v4, v5
	v_add_f32_e32 v0, v0, v2
	s_delay_alu instid0(VALU_DEP_1) | instskip(NEXT) | instid1(VALU_DEP_1)
	v_dual_add_f32 v1, v1, v6 :: v_dual_add_f32 v4, v0, v3
	v_add_f32_e32 v17, v1, v7
	ds_load_b128 v[0:3], v16 offset:224
	s_waitcnt lgkmcnt(2)
	v_add_f32_e32 v8, v4, v8
	ds_load_b128 v[4:7], v16 offset:480
	s_waitcnt lgkmcnt(2)
	v_add_f32_e32 v12, v17, v12
	v_add_f32_e32 v8, v8, v9
	s_delay_alu instid0(VALU_DEP_2) | instskip(NEXT) | instid1(VALU_DEP_2)
	v_add_f32_e32 v9, v12, v13
	v_add_f32_e32 v8, v8, v10
	s_delay_alu instid0(VALU_DEP_2) | instskip(NEXT) | instid1(VALU_DEP_1)
	v_add_f32_e32 v9, v9, v14
	v_add_f32_e32 v18, v9, v15
	s_delay_alu instid0(VALU_DEP_3)
	v_add_f32_e32 v17, v8, v11
	ds_load_b128 v[8:11], v16 offset:496
	ds_load_b128 v[12:15], v16 offset:240
	s_waitcnt lgkmcnt(3)
	v_add_f32_e32 v0, v18, v0
	s_waitcnt lgkmcnt(2)
	v_add_f32_e32 v4, v17, v4
	s_delay_alu instid0(VALU_DEP_2) | instskip(NEXT) | instid1(VALU_DEP_2)
	v_add_f32_e32 v0, v0, v1
	v_add_f32_e32 v4, v4, v5
	s_delay_alu instid0(VALU_DEP_2) | instskip(NEXT) | instid1(VALU_DEP_2)
	v_add_f32_e32 v0, v0, v2
	v_add_f32_e32 v1, v4, v6
	s_delay_alu instid0(VALU_DEP_2) | instskip(SKIP_1) | instid1(VALU_DEP_1)
	v_add_f32_e32 v0, v0, v3
	s_waitcnt lgkmcnt(0)
	v_dual_add_f32 v1, v1, v7 :: v_dual_add_f32 v0, v0, v12
	s_delay_alu instid0(VALU_DEP_1) | instskip(NEXT) | instid1(VALU_DEP_1)
	v_dual_add_f32 v1, v1, v8 :: v_dual_add_f32 v0, v0, v13
	v_dual_add_f32 v1, v1, v9 :: v_dual_add_f32 v0, v0, v14
	s_delay_alu instid0(VALU_DEP_1) | instskip(NEXT) | instid1(VALU_DEP_1)
	v_dual_add_f32 v1, v1, v10 :: v_dual_add_f32 v0, v0, v15
	v_add_f32_e32 v1, v1, v11
	s_delay_alu instid0(VALU_DEP_1) | instskip(NEXT) | instid1(VALU_DEP_1)
	v_div_scale_f32 v2, null, v0, v0, v1
	v_rcp_f32_e32 v3, v2
	s_waitcnt_depctr 0xfff
	v_fma_f32 v4, -v2, v3, 1.0
	s_delay_alu instid0(VALU_DEP_1) | instskip(SKIP_1) | instid1(VALU_DEP_1)
	v_fmac_f32_e32 v3, v4, v3
	v_div_scale_f32 v4, vcc_lo, v1, v0, v1
	v_mul_f32_e32 v5, v4, v3
	s_delay_alu instid0(VALU_DEP_1) | instskip(NEXT) | instid1(VALU_DEP_1)
	v_fma_f32 v6, -v2, v5, v4
	v_fmac_f32_e32 v5, v6, v3
	s_delay_alu instid0(VALU_DEP_1) | instskip(NEXT) | instid1(VALU_DEP_1)
	v_fma_f32 v2, -v2, v5, v4
	v_div_fmas_f32 v2, v2, v3, v5
	s_cselect_b32 vcc_lo, -1, 0
	s_delay_alu instid0(VALU_DEP_1) | instskip(NEXT) | instid1(VALU_DEP_1)
	v_div_fixup_f32 v2, v2, v0, v1
	v_cndmask_b32_e32 v1, v1, v2, vcc_lo
	s_clause 0x1
	global_store_b32 v16, v0, s[6:7]
	global_store_b32 v16, v1, s[4:5]
.LBB0_11:
	s_nop 0
	s_sendmsg sendmsg(MSG_DEALLOC_VGPRS)
	s_endpgm
	.section	.rodata,"a",@progbits
	.p2align	6, 0x0
	.amdhsa_kernel _Z32nll_loss_forward_reduce2d_kernelIffiLi64EEvPT_S1_PKS0_PKT1_S3_blll
		.amdhsa_group_segment_fixed_size 512
		.amdhsa_private_segment_fixed_size 0
		.amdhsa_kernarg_size 72
		.amdhsa_user_sgpr_count 15
		.amdhsa_user_sgpr_dispatch_ptr 0
		.amdhsa_user_sgpr_queue_ptr 0
		.amdhsa_user_sgpr_kernarg_segment_ptr 1
		.amdhsa_user_sgpr_dispatch_id 0
		.amdhsa_user_sgpr_private_segment_size 0
		.amdhsa_wavefront_size32 1
		.amdhsa_uses_dynamic_stack 0
		.amdhsa_enable_private_segment 0
		.amdhsa_system_sgpr_workgroup_id_x 1
		.amdhsa_system_sgpr_workgroup_id_y 0
		.amdhsa_system_sgpr_workgroup_id_z 0
		.amdhsa_system_sgpr_workgroup_info 0
		.amdhsa_system_vgpr_workitem_id 0
		.amdhsa_next_free_vgpr 19
		.amdhsa_next_free_sgpr 24
		.amdhsa_reserve_vcc 1
		.amdhsa_float_round_mode_32 0
		.amdhsa_float_round_mode_16_64 0
		.amdhsa_float_denorm_mode_32 3
		.amdhsa_float_denorm_mode_16_64 3
		.amdhsa_dx10_clamp 1
		.amdhsa_ieee_mode 1
		.amdhsa_fp16_overflow 0
		.amdhsa_workgroup_processor_mode 1
		.amdhsa_memory_ordered 1
		.amdhsa_forward_progress 0
		.amdhsa_shared_vgpr_count 0
		.amdhsa_exception_fp_ieee_invalid_op 0
		.amdhsa_exception_fp_denorm_src 0
		.amdhsa_exception_fp_ieee_div_zero 0
		.amdhsa_exception_fp_ieee_overflow 0
		.amdhsa_exception_fp_ieee_underflow 0
		.amdhsa_exception_fp_ieee_inexact 0
		.amdhsa_exception_int_div_zero 0
	.end_amdhsa_kernel
	.section	.text._Z32nll_loss_forward_reduce2d_kernelIffiLi64EEvPT_S1_PKS0_PKT1_S3_blll,"axG",@progbits,_Z32nll_loss_forward_reduce2d_kernelIffiLi64EEvPT_S1_PKS0_PKT1_S3_blll,comdat
.Lfunc_end0:
	.size	_Z32nll_loss_forward_reduce2d_kernelIffiLi64EEvPT_S1_PKS0_PKT1_S3_blll, .Lfunc_end0-_Z32nll_loss_forward_reduce2d_kernelIffiLi64EEvPT_S1_PKS0_PKT1_S3_blll
                                        ; -- End function
	.section	.AMDGPU.csdata,"",@progbits
; Kernel info:
; codeLenInByte = 1628
; NumSgprs: 26
; NumVgprs: 19
; ScratchSize: 0
; MemoryBound: 0
; FloatMode: 240
; IeeeMode: 1
; LDSByteSize: 512 bytes/workgroup (compile time only)
; SGPRBlocks: 3
; VGPRBlocks: 2
; NumSGPRsForWavesPerEU: 26
; NumVGPRsForWavesPerEU: 19
; Occupancy: 16
; WaveLimiterHint : 1
; COMPUTE_PGM_RSRC2:SCRATCH_EN: 0
; COMPUTE_PGM_RSRC2:USER_SGPR: 15
; COMPUTE_PGM_RSRC2:TRAP_HANDLER: 0
; COMPUTE_PGM_RSRC2:TGID_X_EN: 1
; COMPUTE_PGM_RSRC2:TGID_Y_EN: 0
; COMPUTE_PGM_RSRC2:TGID_Z_EN: 0
; COMPUTE_PGM_RSRC2:TIDIG_COMP_CNT: 0
	.section	.text._Z32nll_loss_forward_reduce2d_kernelIffiLi128EEvPT_S1_PKS0_PKT1_S3_blll,"axG",@progbits,_Z32nll_loss_forward_reduce2d_kernelIffiLi128EEvPT_S1_PKS0_PKT1_S3_blll,comdat
	.protected	_Z32nll_loss_forward_reduce2d_kernelIffiLi128EEvPT_S1_PKS0_PKT1_S3_blll ; -- Begin function _Z32nll_loss_forward_reduce2d_kernelIffiLi128EEvPT_S1_PKS0_PKT1_S3_blll
	.globl	_Z32nll_loss_forward_reduce2d_kernelIffiLi128EEvPT_S1_PKS0_PKT1_S3_blll
	.p2align	8
	.type	_Z32nll_loss_forward_reduce2d_kernelIffiLi128EEvPT_S1_PKS0_PKT1_S3_blll,@function
_Z32nll_loss_forward_reduce2d_kernelIffiLi128EEvPT_S1_PKS0_PKT1_S3_blll: ; @_Z32nll_loss_forward_reduce2d_kernelIffiLi128EEvPT_S1_PKS0_PKT1_S3_blll
; %bb.0:
	s_clause 0x1
	s_load_b128 s[8:11], s[0:1], 0x30
	s_load_b128 s[4:7], s[0:1], 0x0
	v_dual_mov_b32 v1, 0 :: v_dual_lshlrev_b32 v8, 2, v0
	s_mov_b32 s3, exec_lo
	ds_store_2addr_stride64_b32 v8, v1, v1 offset1:2
	s_waitcnt lgkmcnt(0)
	v_cmpx_gt_i64_e64 s[8:9], v[0:1]
	s_cbranch_execz .LBB1_8
; %bb.1:
	v_mad_u64_u32 v[2:3], null, s10, v0, 0
	s_clause 0x2
	s_load_b64 s[12:13], s[0:1], 0x20
	s_load_b128 s[20:23], s[0:1], 0x10
	s_load_b64 s[14:15], s[0:1], 0x40
	v_dual_mov_b32 v10, v1 :: v_dual_add_nc_u32 v9, 0x200, v8
	s_mov_b32 s17, 0
	v_lshlrev_b32_e32 v6, 2, v0
	v_mad_u64_u32 v[4:5], null, s11, v0, v[3:4]
	s_delay_alu instid0(VALU_DEP_1) | instskip(SKIP_2) | instid1(VALU_DEP_1)
	v_mov_b32_e32 v3, v4
	s_waitcnt lgkmcnt(0)
	s_cmp_lg_u64 s[12:13], 0
	v_lshlrev_b64 v[4:5], 2, v[2:3]
	v_add_co_u32 v2, s2, s22, v6
	s_delay_alu instid0(VALU_DEP_1) | instskip(SKIP_1) | instid1(VALU_DEP_3)
	v_add_co_ci_u32_e64 v3, null, s23, 0, s2
	s_cselect_b32 s16, -1, 0
	v_add_co_u32 v11, vcc_lo, s20, v4
	s_delay_alu instid0(VALU_DEP_4)
	v_add_co_ci_u32_e32 v12, vcc_lo, s21, v5, vcc_lo
	v_dual_mov_b32 v5, v1 :: v_dual_mov_b32 v4, v0
	s_lshl_b64 s[10:11], s[10:11], 9
	s_set_inst_prefetch_distance 0x1
	s_branch .LBB1_5
	.p2align	6
.LBB1_2:                                ;   in Loop: Header=BB1_5 Depth=1
	s_delay_alu instid0(VALU_DEP_1) | instskip(NEXT) | instid1(VALU_DEP_2)
	v_add_co_u32 v13, vcc_lo, s12, v6
	v_add_co_ci_u32_e32 v14, vcc_lo, s13, v7, vcc_lo
	global_load_b32 v13, v[13:14], off
.LBB1_3:                                ;   in Loop: Header=BB1_5 Depth=1
	s_delay_alu instid0(VALU_DEP_2)
	v_add_co_u32 v6, vcc_lo, v11, v6
	v_add_co_ci_u32_e32 v7, vcc_lo, v12, v7, vcc_lo
	s_waitcnt vmcnt(0)
	v_add_f32_e32 v1, v13, v1
	global_load_b32 v6, v[6:7], off
	s_waitcnt vmcnt(0)
	v_fma_f32 v10, -v13, v6, v10
	ds_store_b32 v9, v10
	ds_store_b32 v8, v1
.LBB1_4:                                ;   in Loop: Header=BB1_5 Depth=1
	s_or_b32 exec_lo, exec_lo, s2
	v_add_co_u32 v4, vcc_lo, 0x80, v4
	v_add_co_ci_u32_e32 v5, vcc_lo, 0, v5, vcc_lo
	v_add_co_u32 v11, vcc_lo, v11, s10
	v_add_co_ci_u32_e32 v12, vcc_lo, s11, v12, vcc_lo
	s_delay_alu instid0(VALU_DEP_3) | instskip(SKIP_1) | instid1(VALU_DEP_1)
	v_cmp_le_i64_e32 vcc_lo, s[8:9], v[4:5]
	v_add_co_u32 v2, s2, 0x200, v2
	v_add_co_ci_u32_e64 v3, s2, 0, v3, s2
	s_or_b32 s17, vcc_lo, s17
	s_delay_alu instid0(SALU_CYCLE_1)
	s_and_not1_b32 exec_lo, exec_lo, s17
	s_cbranch_execz .LBB1_8
.LBB1_5:                                ; =>This Inner Loop Header: Depth=1
	global_load_b32 v6, v[2:3], off
	s_mov_b32 s2, exec_lo
	s_waitcnt vmcnt(0)
	v_ashrrev_i32_e32 v7, 31, v6
	s_delay_alu instid0(VALU_DEP_1)
	v_cmpx_ne_u64_e64 s[14:15], v[6:7]
	s_cbranch_execz .LBB1_4
; %bb.6:                                ;   in Loop: Header=BB1_5 Depth=1
	v_lshlrev_b64 v[6:7], 2, v[6:7]
	s_and_not1_b32 vcc_lo, exec_lo, s16
	s_cbranch_vccz .LBB1_2
; %bb.7:                                ;   in Loop: Header=BB1_5 Depth=1
	v_mov_b32_e32 v13, 1.0
	s_branch .LBB1_3
.LBB1_8:
	s_set_inst_prefetch_distance 0x2
	s_or_b32 exec_lo, exec_lo, s3
; %bb.9:
	s_waitcnt lgkmcnt(0)
	s_barrier
	buffer_gl0_inv
	s_mov_b32 s2, exec_lo
	v_cmpx_eq_u32_e32 0, v0
	s_cbranch_execz .LBB1_13
; %bb.10:
	v_dual_mov_b32 v0, 0 :: v_dual_mov_b32 v1, 0
	s_mov_b32 s2, 0
.LBB1_11:                               ; =>This Inner Loop Header: Depth=1
	s_delay_alu instid0(SALU_CYCLE_1)
	v_mov_b32_e32 v18, s2
	s_add_i32 s2, s2, 64
	ds_load_b128 v[2:5], v18 offset:512
	ds_load_b128 v[6:9], v18
	ds_load_b128 v[10:13], v18 offset:16
	ds_load_b128 v[14:17], v18 offset:528
	s_cmpk_eq_i32 s2, 0x200
	s_waitcnt lgkmcnt(3)
	v_add_f32_e32 v1, v1, v2
	s_waitcnt lgkmcnt(2)
	s_delay_alu instid0(VALU_DEP_1) | instskip(NEXT) | instid1(VALU_DEP_1)
	v_dual_add_f32 v0, v0, v6 :: v_dual_add_f32 v1, v1, v3
	v_dual_add_f32 v0, v0, v7 :: v_dual_add_f32 v1, v1, v4
	s_delay_alu instid0(VALU_DEP_1) | instskip(NEXT) | instid1(VALU_DEP_2)
	v_add_f32_e32 v0, v0, v8
	v_add_f32_e32 v8, v1, v5
	s_delay_alu instid0(VALU_DEP_2)
	v_add_f32_e32 v9, v0, v9
	ds_load_b128 v[0:3], v18 offset:544
	ds_load_b128 v[4:7], v18 offset:32
	s_waitcnt lgkmcnt(3)
	v_add_f32_e32 v9, v9, v10
	s_waitcnt lgkmcnt(2)
	s_delay_alu instid0(VALU_DEP_1) | instskip(NEXT) | instid1(VALU_DEP_1)
	v_dual_add_f32 v8, v8, v14 :: v_dual_add_f32 v9, v9, v11
	v_dual_add_f32 v8, v8, v15 :: v_dual_add_f32 v9, v9, v12
	s_delay_alu instid0(VALU_DEP_1) | instskip(NEXT) | instid1(VALU_DEP_1)
	v_add_f32_e32 v8, v8, v16
	v_add_f32_e32 v16, v8, v17
	s_delay_alu instid0(VALU_DEP_3)
	v_add_f32_e32 v17, v9, v13
	ds_load_b128 v[8:11], v18 offset:48
	ds_load_b128 v[12:15], v18 offset:560
	s_waitcnt lgkmcnt(3)
	v_add_f32_e32 v0, v16, v0
	s_waitcnt lgkmcnt(2)
	v_add_f32_e32 v4, v17, v4
	s_delay_alu instid0(VALU_DEP_2) | instskip(NEXT) | instid1(VALU_DEP_2)
	v_add_f32_e32 v0, v0, v1
	v_add_f32_e32 v1, v4, v5
	s_delay_alu instid0(VALU_DEP_1) | instskip(NEXT) | instid1(VALU_DEP_1)
	v_add_f32_e32 v1, v1, v6
	v_add_f32_e32 v1, v1, v7
	s_waitcnt lgkmcnt(1)
	s_delay_alu instid0(VALU_DEP_1) | instskip(NEXT) | instid1(VALU_DEP_1)
	v_dual_add_f32 v1, v1, v8 :: v_dual_add_f32 v0, v0, v2
	v_dual_add_f32 v1, v1, v9 :: v_dual_add_f32 v0, v0, v3
	s_delay_alu instid0(VALU_DEP_1) | instskip(SKIP_1) | instid1(VALU_DEP_2)
	v_add_f32_e32 v2, v1, v10
	s_waitcnt lgkmcnt(0)
	v_add_f32_e32 v0, v0, v12
	s_delay_alu instid0(VALU_DEP_1) | instskip(NEXT) | instid1(VALU_DEP_1)
	v_add_f32_e32 v0, v0, v13
	v_add_f32_e32 v0, v0, v14
	s_delay_alu instid0(VALU_DEP_1)
	v_add_f32_e32 v1, v0, v15
	v_add_f32_e32 v0, v2, v11
	s_cbranch_scc0 .LBB1_11
; %bb.12:
	s_delay_alu instid0(VALU_DEP_1) | instskip(SKIP_1) | instid1(VALU_DEP_1)
	v_div_scale_f32 v2, null, v0, v0, v1
	s_load_b32 s0, s[0:1], 0x28
	v_rcp_f32_e32 v3, v2
	s_waitcnt_depctr 0xfff
	v_fma_f32 v4, -v2, v3, 1.0
	s_delay_alu instid0(VALU_DEP_1) | instskip(SKIP_3) | instid1(VALU_DEP_1)
	v_fmac_f32_e32 v3, v4, v3
	v_div_scale_f32 v4, vcc_lo, v1, v0, v1
	s_waitcnt lgkmcnt(0)
	s_bitcmp1_b32 s0, 0
	v_mul_f32_e32 v5, v4, v3
	s_delay_alu instid0(VALU_DEP_1) | instskip(NEXT) | instid1(VALU_DEP_1)
	v_fma_f32 v6, -v2, v5, v4
	v_fmac_f32_e32 v5, v6, v3
	s_delay_alu instid0(VALU_DEP_1) | instskip(NEXT) | instid1(VALU_DEP_1)
	v_fma_f32 v2, -v2, v5, v4
	v_div_fmas_f32 v2, v2, v3, v5
	s_cselect_b32 vcc_lo, -1, 0
	v_mov_b32_e32 v3, 0
	s_delay_alu instid0(VALU_DEP_2) | instskip(NEXT) | instid1(VALU_DEP_1)
	v_div_fixup_f32 v2, v2, v0, v1
	v_cndmask_b32_e32 v1, v1, v2, vcc_lo
	s_clause 0x1
	global_store_b32 v3, v0, s[6:7]
	global_store_b32 v3, v1, s[4:5]
.LBB1_13:
	s_nop 0
	s_sendmsg sendmsg(MSG_DEALLOC_VGPRS)
	s_endpgm
	.section	.rodata,"a",@progbits
	.p2align	6, 0x0
	.amdhsa_kernel _Z32nll_loss_forward_reduce2d_kernelIffiLi128EEvPT_S1_PKS0_PKT1_S3_blll
		.amdhsa_group_segment_fixed_size 1024
		.amdhsa_private_segment_fixed_size 0
		.amdhsa_kernarg_size 72
		.amdhsa_user_sgpr_count 15
		.amdhsa_user_sgpr_dispatch_ptr 0
		.amdhsa_user_sgpr_queue_ptr 0
		.amdhsa_user_sgpr_kernarg_segment_ptr 1
		.amdhsa_user_sgpr_dispatch_id 0
		.amdhsa_user_sgpr_private_segment_size 0
		.amdhsa_wavefront_size32 1
		.amdhsa_uses_dynamic_stack 0
		.amdhsa_enable_private_segment 0
		.amdhsa_system_sgpr_workgroup_id_x 1
		.amdhsa_system_sgpr_workgroup_id_y 0
		.amdhsa_system_sgpr_workgroup_id_z 0
		.amdhsa_system_sgpr_workgroup_info 0
		.amdhsa_system_vgpr_workitem_id 0
		.amdhsa_next_free_vgpr 19
		.amdhsa_next_free_sgpr 24
		.amdhsa_reserve_vcc 1
		.amdhsa_float_round_mode_32 0
		.amdhsa_float_round_mode_16_64 0
		.amdhsa_float_denorm_mode_32 3
		.amdhsa_float_denorm_mode_16_64 3
		.amdhsa_dx10_clamp 1
		.amdhsa_ieee_mode 1
		.amdhsa_fp16_overflow 0
		.amdhsa_workgroup_processor_mode 1
		.amdhsa_memory_ordered 1
		.amdhsa_forward_progress 0
		.amdhsa_shared_vgpr_count 0
		.amdhsa_exception_fp_ieee_invalid_op 0
		.amdhsa_exception_fp_denorm_src 0
		.amdhsa_exception_fp_ieee_div_zero 0
		.amdhsa_exception_fp_ieee_overflow 0
		.amdhsa_exception_fp_ieee_underflow 0
		.amdhsa_exception_fp_ieee_inexact 0
		.amdhsa_exception_int_div_zero 0
	.end_amdhsa_kernel
	.section	.text._Z32nll_loss_forward_reduce2d_kernelIffiLi128EEvPT_S1_PKS0_PKT1_S3_blll,"axG",@progbits,_Z32nll_loss_forward_reduce2d_kernelIffiLi128EEvPT_S1_PKS0_PKT1_S3_blll,comdat
.Lfunc_end1:
	.size	_Z32nll_loss_forward_reduce2d_kernelIffiLi128EEvPT_S1_PKS0_PKT1_S3_blll, .Lfunc_end1-_Z32nll_loss_forward_reduce2d_kernelIffiLi128EEvPT_S1_PKS0_PKT1_S3_blll
                                        ; -- End function
	.section	.AMDGPU.csdata,"",@progbits
; Kernel info:
; codeLenInByte = 920
; NumSgprs: 26
; NumVgprs: 19
; ScratchSize: 0
; MemoryBound: 0
; FloatMode: 240
; IeeeMode: 1
; LDSByteSize: 1024 bytes/workgroup (compile time only)
; SGPRBlocks: 3
; VGPRBlocks: 2
; NumSGPRsForWavesPerEU: 26
; NumVGPRsForWavesPerEU: 19
; Occupancy: 16
; WaveLimiterHint : 1
; COMPUTE_PGM_RSRC2:SCRATCH_EN: 0
; COMPUTE_PGM_RSRC2:USER_SGPR: 15
; COMPUTE_PGM_RSRC2:TRAP_HANDLER: 0
; COMPUTE_PGM_RSRC2:TGID_X_EN: 1
; COMPUTE_PGM_RSRC2:TGID_Y_EN: 0
; COMPUTE_PGM_RSRC2:TGID_Z_EN: 0
; COMPUTE_PGM_RSRC2:TIDIG_COMP_CNT: 0
	.section	.text._Z32nll_loss_forward_reduce2d_kernelIffiLi256EEvPT_S1_PKS0_PKT1_S3_blll,"axG",@progbits,_Z32nll_loss_forward_reduce2d_kernelIffiLi256EEvPT_S1_PKS0_PKT1_S3_blll,comdat
	.protected	_Z32nll_loss_forward_reduce2d_kernelIffiLi256EEvPT_S1_PKS0_PKT1_S3_blll ; -- Begin function _Z32nll_loss_forward_reduce2d_kernelIffiLi256EEvPT_S1_PKS0_PKT1_S3_blll
	.globl	_Z32nll_loss_forward_reduce2d_kernelIffiLi256EEvPT_S1_PKS0_PKT1_S3_blll
	.p2align	8
	.type	_Z32nll_loss_forward_reduce2d_kernelIffiLi256EEvPT_S1_PKS0_PKT1_S3_blll,@function
_Z32nll_loss_forward_reduce2d_kernelIffiLi256EEvPT_S1_PKS0_PKT1_S3_blll: ; @_Z32nll_loss_forward_reduce2d_kernelIffiLi256EEvPT_S1_PKS0_PKT1_S3_blll
; %bb.0:
	s_clause 0x1
	s_load_b128 s[8:11], s[0:1], 0x30
	s_load_b128 s[4:7], s[0:1], 0x0
	v_dual_mov_b32 v1, 0 :: v_dual_lshlrev_b32 v8, 2, v0
	s_mov_b32 s3, exec_lo
	ds_store_2addr_stride64_b32 v8, v1, v1 offset1:4
	s_waitcnt lgkmcnt(0)
	v_cmpx_gt_i64_e64 s[8:9], v[0:1]
	s_cbranch_execz .LBB2_8
; %bb.1:
	v_mad_u64_u32 v[2:3], null, s10, v0, 0
	s_clause 0x2
	s_load_b64 s[12:13], s[0:1], 0x20
	s_load_b128 s[20:23], s[0:1], 0x10
	s_load_b64 s[14:15], s[0:1], 0x40
	v_dual_mov_b32 v10, v1 :: v_dual_add_nc_u32 v9, 0x400, v8
	s_mov_b32 s17, 0
	v_lshlrev_b32_e32 v6, 2, v0
	v_mad_u64_u32 v[4:5], null, s11, v0, v[3:4]
	s_delay_alu instid0(VALU_DEP_1) | instskip(SKIP_2) | instid1(VALU_DEP_1)
	v_mov_b32_e32 v3, v4
	s_waitcnt lgkmcnt(0)
	s_cmp_lg_u64 s[12:13], 0
	v_lshlrev_b64 v[4:5], 2, v[2:3]
	v_add_co_u32 v2, s2, s22, v6
	s_delay_alu instid0(VALU_DEP_1) | instskip(SKIP_1) | instid1(VALU_DEP_3)
	v_add_co_ci_u32_e64 v3, null, s23, 0, s2
	s_cselect_b32 s16, -1, 0
	v_add_co_u32 v11, vcc_lo, s20, v4
	s_delay_alu instid0(VALU_DEP_4)
	v_add_co_ci_u32_e32 v12, vcc_lo, s21, v5, vcc_lo
	v_dual_mov_b32 v5, v1 :: v_dual_mov_b32 v4, v0
	s_lshl_b64 s[10:11], s[10:11], 10
	s_set_inst_prefetch_distance 0x1
	s_branch .LBB2_5
	.p2align	6
.LBB2_2:                                ;   in Loop: Header=BB2_5 Depth=1
	s_delay_alu instid0(VALU_DEP_1) | instskip(NEXT) | instid1(VALU_DEP_2)
	v_add_co_u32 v13, vcc_lo, s12, v6
	v_add_co_ci_u32_e32 v14, vcc_lo, s13, v7, vcc_lo
	global_load_b32 v13, v[13:14], off
.LBB2_3:                                ;   in Loop: Header=BB2_5 Depth=1
	s_delay_alu instid0(VALU_DEP_2)
	v_add_co_u32 v6, vcc_lo, v11, v6
	v_add_co_ci_u32_e32 v7, vcc_lo, v12, v7, vcc_lo
	s_waitcnt vmcnt(0)
	v_add_f32_e32 v1, v13, v1
	global_load_b32 v6, v[6:7], off
	s_waitcnt vmcnt(0)
	v_fma_f32 v10, -v13, v6, v10
	ds_store_b32 v9, v10
	ds_store_b32 v8, v1
.LBB2_4:                                ;   in Loop: Header=BB2_5 Depth=1
	s_or_b32 exec_lo, exec_lo, s2
	v_add_co_u32 v4, vcc_lo, 0x100, v4
	v_add_co_ci_u32_e32 v5, vcc_lo, 0, v5, vcc_lo
	v_add_co_u32 v11, vcc_lo, v11, s10
	v_add_co_ci_u32_e32 v12, vcc_lo, s11, v12, vcc_lo
	s_delay_alu instid0(VALU_DEP_3) | instskip(SKIP_1) | instid1(VALU_DEP_1)
	v_cmp_le_i64_e32 vcc_lo, s[8:9], v[4:5]
	v_add_co_u32 v2, s2, 0x400, v2
	v_add_co_ci_u32_e64 v3, s2, 0, v3, s2
	s_or_b32 s17, vcc_lo, s17
	s_delay_alu instid0(SALU_CYCLE_1)
	s_and_not1_b32 exec_lo, exec_lo, s17
	s_cbranch_execz .LBB2_8
.LBB2_5:                                ; =>This Inner Loop Header: Depth=1
	global_load_b32 v6, v[2:3], off
	s_mov_b32 s2, exec_lo
	s_waitcnt vmcnt(0)
	v_ashrrev_i32_e32 v7, 31, v6
	s_delay_alu instid0(VALU_DEP_1)
	v_cmpx_ne_u64_e64 s[14:15], v[6:7]
	s_cbranch_execz .LBB2_4
; %bb.6:                                ;   in Loop: Header=BB2_5 Depth=1
	v_lshlrev_b64 v[6:7], 2, v[6:7]
	s_and_not1_b32 vcc_lo, exec_lo, s16
	s_cbranch_vccz .LBB2_2
; %bb.7:                                ;   in Loop: Header=BB2_5 Depth=1
	v_mov_b32_e32 v13, 1.0
	s_branch .LBB2_3
.LBB2_8:
	s_set_inst_prefetch_distance 0x2
	s_or_b32 exec_lo, exec_lo, s3
; %bb.9:
	s_waitcnt lgkmcnt(0)
	s_barrier
	buffer_gl0_inv
	s_mov_b32 s2, exec_lo
	v_cmpx_eq_u32_e32 0, v0
	s_cbranch_execz .LBB2_13
; %bb.10:
	v_dual_mov_b32 v0, 0 :: v_dual_mov_b32 v1, 0
	s_mov_b32 s2, 0
.LBB2_11:                               ; =>This Inner Loop Header: Depth=1
	s_delay_alu instid0(SALU_CYCLE_1)
	v_mov_b32_e32 v18, s2
	s_add_i32 s2, s2, 64
	ds_load_b128 v[2:5], v18 offset:1024
	ds_load_b128 v[6:9], v18
	ds_load_b128 v[10:13], v18 offset:16
	ds_load_b128 v[14:17], v18 offset:1040
	s_cmpk_eq_i32 s2, 0x400
	s_waitcnt lgkmcnt(3)
	v_add_f32_e32 v1, v1, v2
	s_waitcnt lgkmcnt(2)
	s_delay_alu instid0(VALU_DEP_1) | instskip(NEXT) | instid1(VALU_DEP_1)
	v_dual_add_f32 v0, v0, v6 :: v_dual_add_f32 v1, v1, v3
	v_dual_add_f32 v0, v0, v7 :: v_dual_add_f32 v1, v1, v4
	s_delay_alu instid0(VALU_DEP_1) | instskip(NEXT) | instid1(VALU_DEP_2)
	v_add_f32_e32 v0, v0, v8
	v_add_f32_e32 v8, v1, v5
	s_delay_alu instid0(VALU_DEP_2)
	v_add_f32_e32 v9, v0, v9
	ds_load_b128 v[0:3], v18 offset:1056
	ds_load_b128 v[4:7], v18 offset:32
	s_waitcnt lgkmcnt(3)
	v_add_f32_e32 v9, v9, v10
	s_waitcnt lgkmcnt(2)
	s_delay_alu instid0(VALU_DEP_1) | instskip(NEXT) | instid1(VALU_DEP_1)
	v_dual_add_f32 v8, v8, v14 :: v_dual_add_f32 v9, v9, v11
	v_dual_add_f32 v8, v8, v15 :: v_dual_add_f32 v9, v9, v12
	s_delay_alu instid0(VALU_DEP_1) | instskip(NEXT) | instid1(VALU_DEP_1)
	v_add_f32_e32 v8, v8, v16
	v_add_f32_e32 v16, v8, v17
	s_delay_alu instid0(VALU_DEP_3)
	v_add_f32_e32 v17, v9, v13
	ds_load_b128 v[8:11], v18 offset:48
	ds_load_b128 v[12:15], v18 offset:1072
	s_waitcnt lgkmcnt(3)
	v_add_f32_e32 v0, v16, v0
	s_waitcnt lgkmcnt(2)
	v_add_f32_e32 v4, v17, v4
	s_delay_alu instid0(VALU_DEP_2) | instskip(NEXT) | instid1(VALU_DEP_2)
	v_add_f32_e32 v0, v0, v1
	v_add_f32_e32 v1, v4, v5
	s_delay_alu instid0(VALU_DEP_1) | instskip(NEXT) | instid1(VALU_DEP_1)
	v_add_f32_e32 v1, v1, v6
	v_add_f32_e32 v1, v1, v7
	s_waitcnt lgkmcnt(1)
	s_delay_alu instid0(VALU_DEP_1) | instskip(NEXT) | instid1(VALU_DEP_1)
	v_dual_add_f32 v1, v1, v8 :: v_dual_add_f32 v0, v0, v2
	v_dual_add_f32 v1, v1, v9 :: v_dual_add_f32 v0, v0, v3
	s_delay_alu instid0(VALU_DEP_1) | instskip(SKIP_1) | instid1(VALU_DEP_2)
	v_add_f32_e32 v2, v1, v10
	s_waitcnt lgkmcnt(0)
	v_add_f32_e32 v0, v0, v12
	s_delay_alu instid0(VALU_DEP_1) | instskip(NEXT) | instid1(VALU_DEP_1)
	v_add_f32_e32 v0, v0, v13
	v_add_f32_e32 v0, v0, v14
	s_delay_alu instid0(VALU_DEP_1)
	v_add_f32_e32 v1, v0, v15
	v_add_f32_e32 v0, v2, v11
	s_cbranch_scc0 .LBB2_11
; %bb.12:
	s_delay_alu instid0(VALU_DEP_1) | instskip(SKIP_1) | instid1(VALU_DEP_1)
	v_div_scale_f32 v2, null, v0, v0, v1
	s_load_b32 s0, s[0:1], 0x28
	v_rcp_f32_e32 v3, v2
	s_waitcnt_depctr 0xfff
	v_fma_f32 v4, -v2, v3, 1.0
	s_delay_alu instid0(VALU_DEP_1) | instskip(SKIP_3) | instid1(VALU_DEP_1)
	v_fmac_f32_e32 v3, v4, v3
	v_div_scale_f32 v4, vcc_lo, v1, v0, v1
	s_waitcnt lgkmcnt(0)
	s_bitcmp1_b32 s0, 0
	v_mul_f32_e32 v5, v4, v3
	s_delay_alu instid0(VALU_DEP_1) | instskip(NEXT) | instid1(VALU_DEP_1)
	v_fma_f32 v6, -v2, v5, v4
	v_fmac_f32_e32 v5, v6, v3
	s_delay_alu instid0(VALU_DEP_1) | instskip(NEXT) | instid1(VALU_DEP_1)
	v_fma_f32 v2, -v2, v5, v4
	v_div_fmas_f32 v2, v2, v3, v5
	s_cselect_b32 vcc_lo, -1, 0
	v_mov_b32_e32 v3, 0
	s_delay_alu instid0(VALU_DEP_2) | instskip(NEXT) | instid1(VALU_DEP_1)
	v_div_fixup_f32 v2, v2, v0, v1
	v_cndmask_b32_e32 v1, v1, v2, vcc_lo
	s_clause 0x1
	global_store_b32 v3, v0, s[6:7]
	global_store_b32 v3, v1, s[4:5]
.LBB2_13:
	s_nop 0
	s_sendmsg sendmsg(MSG_DEALLOC_VGPRS)
	s_endpgm
	.section	.rodata,"a",@progbits
	.p2align	6, 0x0
	.amdhsa_kernel _Z32nll_loss_forward_reduce2d_kernelIffiLi256EEvPT_S1_PKS0_PKT1_S3_blll
		.amdhsa_group_segment_fixed_size 2048
		.amdhsa_private_segment_fixed_size 0
		.amdhsa_kernarg_size 72
		.amdhsa_user_sgpr_count 15
		.amdhsa_user_sgpr_dispatch_ptr 0
		.amdhsa_user_sgpr_queue_ptr 0
		.amdhsa_user_sgpr_kernarg_segment_ptr 1
		.amdhsa_user_sgpr_dispatch_id 0
		.amdhsa_user_sgpr_private_segment_size 0
		.amdhsa_wavefront_size32 1
		.amdhsa_uses_dynamic_stack 0
		.amdhsa_enable_private_segment 0
		.amdhsa_system_sgpr_workgroup_id_x 1
		.amdhsa_system_sgpr_workgroup_id_y 0
		.amdhsa_system_sgpr_workgroup_id_z 0
		.amdhsa_system_sgpr_workgroup_info 0
		.amdhsa_system_vgpr_workitem_id 0
		.amdhsa_next_free_vgpr 19
		.amdhsa_next_free_sgpr 24
		.amdhsa_reserve_vcc 1
		.amdhsa_float_round_mode_32 0
		.amdhsa_float_round_mode_16_64 0
		.amdhsa_float_denorm_mode_32 3
		.amdhsa_float_denorm_mode_16_64 3
		.amdhsa_dx10_clamp 1
		.amdhsa_ieee_mode 1
		.amdhsa_fp16_overflow 0
		.amdhsa_workgroup_processor_mode 1
		.amdhsa_memory_ordered 1
		.amdhsa_forward_progress 0
		.amdhsa_shared_vgpr_count 0
		.amdhsa_exception_fp_ieee_invalid_op 0
		.amdhsa_exception_fp_denorm_src 0
		.amdhsa_exception_fp_ieee_div_zero 0
		.amdhsa_exception_fp_ieee_overflow 0
		.amdhsa_exception_fp_ieee_underflow 0
		.amdhsa_exception_fp_ieee_inexact 0
		.amdhsa_exception_int_div_zero 0
	.end_amdhsa_kernel
	.section	.text._Z32nll_loss_forward_reduce2d_kernelIffiLi256EEvPT_S1_PKS0_PKT1_S3_blll,"axG",@progbits,_Z32nll_loss_forward_reduce2d_kernelIffiLi256EEvPT_S1_PKS0_PKT1_S3_blll,comdat
.Lfunc_end2:
	.size	_Z32nll_loss_forward_reduce2d_kernelIffiLi256EEvPT_S1_PKS0_PKT1_S3_blll, .Lfunc_end2-_Z32nll_loss_forward_reduce2d_kernelIffiLi256EEvPT_S1_PKS0_PKT1_S3_blll
                                        ; -- End function
	.section	.AMDGPU.csdata,"",@progbits
; Kernel info:
; codeLenInByte = 920
; NumSgprs: 26
; NumVgprs: 19
; ScratchSize: 0
; MemoryBound: 0
; FloatMode: 240
; IeeeMode: 1
; LDSByteSize: 2048 bytes/workgroup (compile time only)
; SGPRBlocks: 3
; VGPRBlocks: 2
; NumSGPRsForWavesPerEU: 26
; NumVGPRsForWavesPerEU: 19
; Occupancy: 16
; WaveLimiterHint : 1
; COMPUTE_PGM_RSRC2:SCRATCH_EN: 0
; COMPUTE_PGM_RSRC2:USER_SGPR: 15
; COMPUTE_PGM_RSRC2:TRAP_HANDLER: 0
; COMPUTE_PGM_RSRC2:TGID_X_EN: 1
; COMPUTE_PGM_RSRC2:TGID_Y_EN: 0
; COMPUTE_PGM_RSRC2:TGID_Z_EN: 0
; COMPUTE_PGM_RSRC2:TIDIG_COMP_CNT: 0
	.section	.text._Z32nll_loss_forward_reduce2d_kernelIffiLi512EEvPT_S1_PKS0_PKT1_S3_blll,"axG",@progbits,_Z32nll_loss_forward_reduce2d_kernelIffiLi512EEvPT_S1_PKS0_PKT1_S3_blll,comdat
	.protected	_Z32nll_loss_forward_reduce2d_kernelIffiLi512EEvPT_S1_PKS0_PKT1_S3_blll ; -- Begin function _Z32nll_loss_forward_reduce2d_kernelIffiLi512EEvPT_S1_PKS0_PKT1_S3_blll
	.globl	_Z32nll_loss_forward_reduce2d_kernelIffiLi512EEvPT_S1_PKS0_PKT1_S3_blll
	.p2align	8
	.type	_Z32nll_loss_forward_reduce2d_kernelIffiLi512EEvPT_S1_PKS0_PKT1_S3_blll,@function
_Z32nll_loss_forward_reduce2d_kernelIffiLi512EEvPT_S1_PKS0_PKT1_S3_blll: ; @_Z32nll_loss_forward_reduce2d_kernelIffiLi512EEvPT_S1_PKS0_PKT1_S3_blll
; %bb.0:
	s_clause 0x1
	s_load_b128 s[8:11], s[0:1], 0x30
	s_load_b128 s[4:7], s[0:1], 0x0
	v_dual_mov_b32 v1, 0 :: v_dual_lshlrev_b32 v8, 2, v0
	s_mov_b32 s3, exec_lo
	ds_store_2addr_stride64_b32 v8, v1, v1 offset1:8
	s_waitcnt lgkmcnt(0)
	v_cmpx_gt_i64_e64 s[8:9], v[0:1]
	s_cbranch_execz .LBB3_8
; %bb.1:
	v_mad_u64_u32 v[2:3], null, s10, v0, 0
	s_clause 0x2
	s_load_b64 s[12:13], s[0:1], 0x20
	s_load_b128 s[20:23], s[0:1], 0x10
	s_load_b64 s[14:15], s[0:1], 0x40
	v_dual_mov_b32 v10, v1 :: v_dual_add_nc_u32 v9, 0x800, v8
	s_mov_b32 s17, 0
	v_lshlrev_b32_e32 v6, 2, v0
	v_mad_u64_u32 v[4:5], null, s11, v0, v[3:4]
	s_delay_alu instid0(VALU_DEP_1) | instskip(SKIP_2) | instid1(VALU_DEP_1)
	v_mov_b32_e32 v3, v4
	s_waitcnt lgkmcnt(0)
	s_cmp_lg_u64 s[12:13], 0
	v_lshlrev_b64 v[4:5], 2, v[2:3]
	v_add_co_u32 v2, s2, s22, v6
	s_delay_alu instid0(VALU_DEP_1) | instskip(SKIP_1) | instid1(VALU_DEP_3)
	v_add_co_ci_u32_e64 v3, null, s23, 0, s2
	s_cselect_b32 s16, -1, 0
	v_add_co_u32 v11, vcc_lo, s20, v4
	s_delay_alu instid0(VALU_DEP_4)
	v_add_co_ci_u32_e32 v12, vcc_lo, s21, v5, vcc_lo
	v_dual_mov_b32 v5, v1 :: v_dual_mov_b32 v4, v0
	s_lshl_b64 s[10:11], s[10:11], 11
	s_set_inst_prefetch_distance 0x1
	s_branch .LBB3_5
	.p2align	6
.LBB3_2:                                ;   in Loop: Header=BB3_5 Depth=1
	s_delay_alu instid0(VALU_DEP_1) | instskip(NEXT) | instid1(VALU_DEP_2)
	v_add_co_u32 v13, vcc_lo, s12, v6
	v_add_co_ci_u32_e32 v14, vcc_lo, s13, v7, vcc_lo
	global_load_b32 v13, v[13:14], off
.LBB3_3:                                ;   in Loop: Header=BB3_5 Depth=1
	s_delay_alu instid0(VALU_DEP_2)
	v_add_co_u32 v6, vcc_lo, v11, v6
	v_add_co_ci_u32_e32 v7, vcc_lo, v12, v7, vcc_lo
	s_waitcnt vmcnt(0)
	v_add_f32_e32 v1, v13, v1
	global_load_b32 v6, v[6:7], off
	s_waitcnt vmcnt(0)
	v_fma_f32 v10, -v13, v6, v10
	ds_store_b32 v9, v10
	ds_store_b32 v8, v1
.LBB3_4:                                ;   in Loop: Header=BB3_5 Depth=1
	s_or_b32 exec_lo, exec_lo, s2
	v_add_co_u32 v4, vcc_lo, 0x200, v4
	v_add_co_ci_u32_e32 v5, vcc_lo, 0, v5, vcc_lo
	v_add_co_u32 v11, vcc_lo, v11, s10
	v_add_co_ci_u32_e32 v12, vcc_lo, s11, v12, vcc_lo
	s_delay_alu instid0(VALU_DEP_3) | instskip(SKIP_1) | instid1(VALU_DEP_1)
	v_cmp_le_i64_e32 vcc_lo, s[8:9], v[4:5]
	v_add_co_u32 v2, s2, 0x800, v2
	v_add_co_ci_u32_e64 v3, s2, 0, v3, s2
	s_or_b32 s17, vcc_lo, s17
	s_delay_alu instid0(SALU_CYCLE_1)
	s_and_not1_b32 exec_lo, exec_lo, s17
	s_cbranch_execz .LBB3_8
.LBB3_5:                                ; =>This Inner Loop Header: Depth=1
	global_load_b32 v6, v[2:3], off
	s_mov_b32 s2, exec_lo
	s_waitcnt vmcnt(0)
	v_ashrrev_i32_e32 v7, 31, v6
	s_delay_alu instid0(VALU_DEP_1)
	v_cmpx_ne_u64_e64 s[14:15], v[6:7]
	s_cbranch_execz .LBB3_4
; %bb.6:                                ;   in Loop: Header=BB3_5 Depth=1
	v_lshlrev_b64 v[6:7], 2, v[6:7]
	s_and_not1_b32 vcc_lo, exec_lo, s16
	s_cbranch_vccz .LBB3_2
; %bb.7:                                ;   in Loop: Header=BB3_5 Depth=1
	v_mov_b32_e32 v13, 1.0
	s_branch .LBB3_3
.LBB3_8:
	s_set_inst_prefetch_distance 0x2
	s_or_b32 exec_lo, exec_lo, s3
; %bb.9:
	s_waitcnt lgkmcnt(0)
	s_barrier
	buffer_gl0_inv
	s_mov_b32 s2, exec_lo
	v_cmpx_eq_u32_e32 0, v0
	s_cbranch_execz .LBB3_13
; %bb.10:
	v_dual_mov_b32 v0, 0 :: v_dual_mov_b32 v1, 0
	s_mov_b32 s2, 0
.LBB3_11:                               ; =>This Inner Loop Header: Depth=1
	s_delay_alu instid0(SALU_CYCLE_1)
	v_mov_b32_e32 v18, s2
	s_add_i32 s2, s2, 64
	ds_load_b128 v[2:5], v18 offset:2048
	ds_load_b128 v[6:9], v18
	ds_load_b128 v[10:13], v18 offset:16
	ds_load_b128 v[14:17], v18 offset:2064
	s_cmpk_eq_i32 s2, 0x800
	s_waitcnt lgkmcnt(3)
	v_add_f32_e32 v1, v1, v2
	s_waitcnt lgkmcnt(2)
	s_delay_alu instid0(VALU_DEP_1) | instskip(NEXT) | instid1(VALU_DEP_1)
	v_dual_add_f32 v0, v0, v6 :: v_dual_add_f32 v1, v1, v3
	v_dual_add_f32 v0, v0, v7 :: v_dual_add_f32 v1, v1, v4
	s_delay_alu instid0(VALU_DEP_1) | instskip(NEXT) | instid1(VALU_DEP_2)
	v_add_f32_e32 v0, v0, v8
	v_add_f32_e32 v8, v1, v5
	s_delay_alu instid0(VALU_DEP_2)
	v_add_f32_e32 v9, v0, v9
	ds_load_b128 v[0:3], v18 offset:2080
	ds_load_b128 v[4:7], v18 offset:32
	s_waitcnt lgkmcnt(3)
	v_add_f32_e32 v9, v9, v10
	s_waitcnt lgkmcnt(2)
	s_delay_alu instid0(VALU_DEP_1) | instskip(NEXT) | instid1(VALU_DEP_1)
	v_dual_add_f32 v8, v8, v14 :: v_dual_add_f32 v9, v9, v11
	v_dual_add_f32 v8, v8, v15 :: v_dual_add_f32 v9, v9, v12
	s_delay_alu instid0(VALU_DEP_1) | instskip(NEXT) | instid1(VALU_DEP_1)
	v_add_f32_e32 v8, v8, v16
	v_add_f32_e32 v16, v8, v17
	s_delay_alu instid0(VALU_DEP_3)
	v_add_f32_e32 v17, v9, v13
	ds_load_b128 v[8:11], v18 offset:48
	ds_load_b128 v[12:15], v18 offset:2096
	s_waitcnt lgkmcnt(3)
	v_add_f32_e32 v0, v16, v0
	s_waitcnt lgkmcnt(2)
	v_add_f32_e32 v4, v17, v4
	s_delay_alu instid0(VALU_DEP_2) | instskip(NEXT) | instid1(VALU_DEP_2)
	v_add_f32_e32 v0, v0, v1
	v_add_f32_e32 v1, v4, v5
	s_delay_alu instid0(VALU_DEP_1) | instskip(NEXT) | instid1(VALU_DEP_1)
	v_add_f32_e32 v1, v1, v6
	v_add_f32_e32 v1, v1, v7
	s_waitcnt lgkmcnt(1)
	s_delay_alu instid0(VALU_DEP_1) | instskip(NEXT) | instid1(VALU_DEP_1)
	v_dual_add_f32 v1, v1, v8 :: v_dual_add_f32 v0, v0, v2
	v_dual_add_f32 v1, v1, v9 :: v_dual_add_f32 v0, v0, v3
	s_delay_alu instid0(VALU_DEP_1) | instskip(SKIP_1) | instid1(VALU_DEP_2)
	v_add_f32_e32 v2, v1, v10
	s_waitcnt lgkmcnt(0)
	v_add_f32_e32 v0, v0, v12
	s_delay_alu instid0(VALU_DEP_1) | instskip(NEXT) | instid1(VALU_DEP_1)
	v_add_f32_e32 v0, v0, v13
	v_add_f32_e32 v0, v0, v14
	s_delay_alu instid0(VALU_DEP_1)
	v_add_f32_e32 v1, v0, v15
	v_add_f32_e32 v0, v2, v11
	s_cbranch_scc0 .LBB3_11
; %bb.12:
	s_delay_alu instid0(VALU_DEP_1) | instskip(SKIP_1) | instid1(VALU_DEP_1)
	v_div_scale_f32 v2, null, v0, v0, v1
	s_load_b32 s0, s[0:1], 0x28
	v_rcp_f32_e32 v3, v2
	s_waitcnt_depctr 0xfff
	v_fma_f32 v4, -v2, v3, 1.0
	s_delay_alu instid0(VALU_DEP_1) | instskip(SKIP_3) | instid1(VALU_DEP_1)
	v_fmac_f32_e32 v3, v4, v3
	v_div_scale_f32 v4, vcc_lo, v1, v0, v1
	s_waitcnt lgkmcnt(0)
	s_bitcmp1_b32 s0, 0
	v_mul_f32_e32 v5, v4, v3
	s_delay_alu instid0(VALU_DEP_1) | instskip(NEXT) | instid1(VALU_DEP_1)
	v_fma_f32 v6, -v2, v5, v4
	v_fmac_f32_e32 v5, v6, v3
	s_delay_alu instid0(VALU_DEP_1) | instskip(NEXT) | instid1(VALU_DEP_1)
	v_fma_f32 v2, -v2, v5, v4
	v_div_fmas_f32 v2, v2, v3, v5
	s_cselect_b32 vcc_lo, -1, 0
	v_mov_b32_e32 v3, 0
	s_delay_alu instid0(VALU_DEP_2) | instskip(NEXT) | instid1(VALU_DEP_1)
	v_div_fixup_f32 v2, v2, v0, v1
	v_cndmask_b32_e32 v1, v1, v2, vcc_lo
	s_clause 0x1
	global_store_b32 v3, v0, s[6:7]
	global_store_b32 v3, v1, s[4:5]
.LBB3_13:
	s_nop 0
	s_sendmsg sendmsg(MSG_DEALLOC_VGPRS)
	s_endpgm
	.section	.rodata,"a",@progbits
	.p2align	6, 0x0
	.amdhsa_kernel _Z32nll_loss_forward_reduce2d_kernelIffiLi512EEvPT_S1_PKS0_PKT1_S3_blll
		.amdhsa_group_segment_fixed_size 4096
		.amdhsa_private_segment_fixed_size 0
		.amdhsa_kernarg_size 72
		.amdhsa_user_sgpr_count 15
		.amdhsa_user_sgpr_dispatch_ptr 0
		.amdhsa_user_sgpr_queue_ptr 0
		.amdhsa_user_sgpr_kernarg_segment_ptr 1
		.amdhsa_user_sgpr_dispatch_id 0
		.amdhsa_user_sgpr_private_segment_size 0
		.amdhsa_wavefront_size32 1
		.amdhsa_uses_dynamic_stack 0
		.amdhsa_enable_private_segment 0
		.amdhsa_system_sgpr_workgroup_id_x 1
		.amdhsa_system_sgpr_workgroup_id_y 0
		.amdhsa_system_sgpr_workgroup_id_z 0
		.amdhsa_system_sgpr_workgroup_info 0
		.amdhsa_system_vgpr_workitem_id 0
		.amdhsa_next_free_vgpr 19
		.amdhsa_next_free_sgpr 24
		.amdhsa_reserve_vcc 1
		.amdhsa_float_round_mode_32 0
		.amdhsa_float_round_mode_16_64 0
		.amdhsa_float_denorm_mode_32 3
		.amdhsa_float_denorm_mode_16_64 3
		.amdhsa_dx10_clamp 1
		.amdhsa_ieee_mode 1
		.amdhsa_fp16_overflow 0
		.amdhsa_workgroup_processor_mode 1
		.amdhsa_memory_ordered 1
		.amdhsa_forward_progress 0
		.amdhsa_shared_vgpr_count 0
		.amdhsa_exception_fp_ieee_invalid_op 0
		.amdhsa_exception_fp_denorm_src 0
		.amdhsa_exception_fp_ieee_div_zero 0
		.amdhsa_exception_fp_ieee_overflow 0
		.amdhsa_exception_fp_ieee_underflow 0
		.amdhsa_exception_fp_ieee_inexact 0
		.amdhsa_exception_int_div_zero 0
	.end_amdhsa_kernel
	.section	.text._Z32nll_loss_forward_reduce2d_kernelIffiLi512EEvPT_S1_PKS0_PKT1_S3_blll,"axG",@progbits,_Z32nll_loss_forward_reduce2d_kernelIffiLi512EEvPT_S1_PKS0_PKT1_S3_blll,comdat
.Lfunc_end3:
	.size	_Z32nll_loss_forward_reduce2d_kernelIffiLi512EEvPT_S1_PKS0_PKT1_S3_blll, .Lfunc_end3-_Z32nll_loss_forward_reduce2d_kernelIffiLi512EEvPT_S1_PKS0_PKT1_S3_blll
                                        ; -- End function
	.section	.AMDGPU.csdata,"",@progbits
; Kernel info:
; codeLenInByte = 920
; NumSgprs: 26
; NumVgprs: 19
; ScratchSize: 0
; MemoryBound: 0
; FloatMode: 240
; IeeeMode: 1
; LDSByteSize: 4096 bytes/workgroup (compile time only)
; SGPRBlocks: 3
; VGPRBlocks: 2
; NumSGPRsForWavesPerEU: 26
; NumVGPRsForWavesPerEU: 19
; Occupancy: 16
; WaveLimiterHint : 1
; COMPUTE_PGM_RSRC2:SCRATCH_EN: 0
; COMPUTE_PGM_RSRC2:USER_SGPR: 15
; COMPUTE_PGM_RSRC2:TRAP_HANDLER: 0
; COMPUTE_PGM_RSRC2:TGID_X_EN: 1
; COMPUTE_PGM_RSRC2:TGID_Y_EN: 0
; COMPUTE_PGM_RSRC2:TGID_Z_EN: 0
; COMPUTE_PGM_RSRC2:TIDIG_COMP_CNT: 0
	.section	.text._Z32nll_loss_forward_reduce2d_kernelIffiLi1024EEvPT_S1_PKS0_PKT1_S3_blll,"axG",@progbits,_Z32nll_loss_forward_reduce2d_kernelIffiLi1024EEvPT_S1_PKS0_PKT1_S3_blll,comdat
	.protected	_Z32nll_loss_forward_reduce2d_kernelIffiLi1024EEvPT_S1_PKS0_PKT1_S3_blll ; -- Begin function _Z32nll_loss_forward_reduce2d_kernelIffiLi1024EEvPT_S1_PKS0_PKT1_S3_blll
	.globl	_Z32nll_loss_forward_reduce2d_kernelIffiLi1024EEvPT_S1_PKS0_PKT1_S3_blll
	.p2align	8
	.type	_Z32nll_loss_forward_reduce2d_kernelIffiLi1024EEvPT_S1_PKS0_PKT1_S3_blll,@function
_Z32nll_loss_forward_reduce2d_kernelIffiLi1024EEvPT_S1_PKS0_PKT1_S3_blll: ; @_Z32nll_loss_forward_reduce2d_kernelIffiLi1024EEvPT_S1_PKS0_PKT1_S3_blll
; %bb.0:
	s_clause 0x1
	s_load_b128 s[8:11], s[0:1], 0x30
	s_load_b128 s[4:7], s[0:1], 0x0
	v_dual_mov_b32 v1, 0 :: v_dual_lshlrev_b32 v8, 2, v0
	s_mov_b32 s3, exec_lo
	ds_store_2addr_stride64_b32 v8, v1, v1 offset1:16
	s_waitcnt lgkmcnt(0)
	v_cmpx_gt_i64_e64 s[8:9], v[0:1]
	s_cbranch_execz .LBB4_8
; %bb.1:
	v_mad_u64_u32 v[2:3], null, s10, v0, 0
	s_clause 0x2
	s_load_b64 s[12:13], s[0:1], 0x20
	s_load_b128 s[20:23], s[0:1], 0x10
	s_load_b64 s[14:15], s[0:1], 0x40
	v_or_b32_e32 v9, 0x1000, v8
	v_mov_b32_e32 v10, v1
	s_mov_b32 s17, 0
	v_lshlrev_b32_e32 v6, 2, v0
	v_mad_u64_u32 v[4:5], null, s11, v0, v[3:4]
	s_delay_alu instid0(VALU_DEP_1) | instskip(SKIP_2) | instid1(VALU_DEP_1)
	v_mov_b32_e32 v3, v4
	s_waitcnt lgkmcnt(0)
	s_cmp_lg_u64 s[12:13], 0
	v_lshlrev_b64 v[4:5], 2, v[2:3]
	v_add_co_u32 v2, s2, s22, v6
	s_delay_alu instid0(VALU_DEP_1) | instskip(SKIP_1) | instid1(VALU_DEP_3)
	v_add_co_ci_u32_e64 v3, null, s23, 0, s2
	s_cselect_b32 s16, -1, 0
	v_add_co_u32 v11, vcc_lo, s20, v4
	s_delay_alu instid0(VALU_DEP_4)
	v_add_co_ci_u32_e32 v12, vcc_lo, s21, v5, vcc_lo
	v_dual_mov_b32 v5, v1 :: v_dual_mov_b32 v4, v0
	s_lshl_b64 s[10:11], s[10:11], 12
	s_set_inst_prefetch_distance 0x1
	s_branch .LBB4_5
	.p2align	6
.LBB4_2:                                ;   in Loop: Header=BB4_5 Depth=1
	s_delay_alu instid0(VALU_DEP_1) | instskip(NEXT) | instid1(VALU_DEP_2)
	v_add_co_u32 v13, vcc_lo, s12, v6
	v_add_co_ci_u32_e32 v14, vcc_lo, s13, v7, vcc_lo
	global_load_b32 v13, v[13:14], off
.LBB4_3:                                ;   in Loop: Header=BB4_5 Depth=1
	s_delay_alu instid0(VALU_DEP_2)
	v_add_co_u32 v6, vcc_lo, v11, v6
	v_add_co_ci_u32_e32 v7, vcc_lo, v12, v7, vcc_lo
	s_waitcnt vmcnt(0)
	v_add_f32_e32 v1, v13, v1
	global_load_b32 v6, v[6:7], off
	s_waitcnt vmcnt(0)
	v_fma_f32 v10, -v13, v6, v10
	ds_store_b32 v9, v10
	ds_store_b32 v8, v1
.LBB4_4:                                ;   in Loop: Header=BB4_5 Depth=1
	s_or_b32 exec_lo, exec_lo, s2
	v_add_co_u32 v4, vcc_lo, 0x400, v4
	v_add_co_ci_u32_e32 v5, vcc_lo, 0, v5, vcc_lo
	v_add_co_u32 v11, vcc_lo, v11, s10
	v_add_co_ci_u32_e32 v12, vcc_lo, s11, v12, vcc_lo
	s_delay_alu instid0(VALU_DEP_3) | instskip(SKIP_1) | instid1(VALU_DEP_1)
	v_cmp_le_i64_e32 vcc_lo, s[8:9], v[4:5]
	v_add_co_u32 v2, s2, 0x1000, v2
	v_add_co_ci_u32_e64 v3, s2, 0, v3, s2
	s_or_b32 s17, vcc_lo, s17
	s_delay_alu instid0(SALU_CYCLE_1)
	s_and_not1_b32 exec_lo, exec_lo, s17
	s_cbranch_execz .LBB4_8
.LBB4_5:                                ; =>This Inner Loop Header: Depth=1
	global_load_b32 v6, v[2:3], off
	s_mov_b32 s2, exec_lo
	s_waitcnt vmcnt(0)
	v_ashrrev_i32_e32 v7, 31, v6
	s_delay_alu instid0(VALU_DEP_1)
	v_cmpx_ne_u64_e64 s[14:15], v[6:7]
	s_cbranch_execz .LBB4_4
; %bb.6:                                ;   in Loop: Header=BB4_5 Depth=1
	v_lshlrev_b64 v[6:7], 2, v[6:7]
	s_and_not1_b32 vcc_lo, exec_lo, s16
	s_cbranch_vccz .LBB4_2
; %bb.7:                                ;   in Loop: Header=BB4_5 Depth=1
	v_mov_b32_e32 v13, 1.0
	s_branch .LBB4_3
.LBB4_8:
	s_set_inst_prefetch_distance 0x2
	s_or_b32 exec_lo, exec_lo, s3
; %bb.9:
	s_waitcnt lgkmcnt(0)
	s_barrier
	buffer_gl0_inv
	s_mov_b32 s2, exec_lo
	v_cmpx_eq_u32_e32 0, v0
	s_cbranch_execz .LBB4_13
; %bb.10:
	v_dual_mov_b32 v0, 0 :: v_dual_mov_b32 v1, 0
	s_mov_b32 s2, 0
.LBB4_11:                               ; =>This Inner Loop Header: Depth=1
	s_delay_alu instid0(SALU_CYCLE_1)
	v_mov_b32_e32 v18, s2
	s_add_i32 s2, s2, 64
	ds_load_b128 v[2:5], v18 offset:4096
	ds_load_b128 v[6:9], v18
	ds_load_b128 v[10:13], v18 offset:16
	ds_load_b128 v[14:17], v18 offset:4112
	s_cmpk_eq_i32 s2, 0x1000
	s_waitcnt lgkmcnt(3)
	v_add_f32_e32 v1, v1, v2
	s_waitcnt lgkmcnt(2)
	s_delay_alu instid0(VALU_DEP_1) | instskip(NEXT) | instid1(VALU_DEP_1)
	v_dual_add_f32 v0, v0, v6 :: v_dual_add_f32 v1, v1, v3
	v_dual_add_f32 v0, v0, v7 :: v_dual_add_f32 v1, v1, v4
	s_delay_alu instid0(VALU_DEP_1) | instskip(NEXT) | instid1(VALU_DEP_2)
	v_add_f32_e32 v0, v0, v8
	v_add_f32_e32 v8, v1, v5
	s_delay_alu instid0(VALU_DEP_2)
	v_add_f32_e32 v9, v0, v9
	ds_load_b128 v[0:3], v18 offset:4128
	ds_load_b128 v[4:7], v18 offset:32
	s_waitcnt lgkmcnt(3)
	v_add_f32_e32 v9, v9, v10
	s_waitcnt lgkmcnt(2)
	s_delay_alu instid0(VALU_DEP_1) | instskip(NEXT) | instid1(VALU_DEP_1)
	v_dual_add_f32 v8, v8, v14 :: v_dual_add_f32 v9, v9, v11
	v_dual_add_f32 v8, v8, v15 :: v_dual_add_f32 v9, v9, v12
	s_delay_alu instid0(VALU_DEP_1) | instskip(NEXT) | instid1(VALU_DEP_1)
	v_add_f32_e32 v8, v8, v16
	v_add_f32_e32 v16, v8, v17
	s_delay_alu instid0(VALU_DEP_3)
	v_add_f32_e32 v17, v9, v13
	ds_load_b128 v[8:11], v18 offset:48
	ds_load_b128 v[12:15], v18 offset:4144
	s_waitcnt lgkmcnt(3)
	v_add_f32_e32 v0, v16, v0
	s_waitcnt lgkmcnt(2)
	v_add_f32_e32 v4, v17, v4
	s_delay_alu instid0(VALU_DEP_2) | instskip(NEXT) | instid1(VALU_DEP_2)
	v_add_f32_e32 v0, v0, v1
	v_add_f32_e32 v1, v4, v5
	s_delay_alu instid0(VALU_DEP_1) | instskip(NEXT) | instid1(VALU_DEP_1)
	v_add_f32_e32 v1, v1, v6
	v_add_f32_e32 v1, v1, v7
	s_waitcnt lgkmcnt(1)
	s_delay_alu instid0(VALU_DEP_1) | instskip(NEXT) | instid1(VALU_DEP_1)
	v_dual_add_f32 v1, v1, v8 :: v_dual_add_f32 v0, v0, v2
	v_dual_add_f32 v1, v1, v9 :: v_dual_add_f32 v0, v0, v3
	s_delay_alu instid0(VALU_DEP_1) | instskip(SKIP_1) | instid1(VALU_DEP_2)
	v_add_f32_e32 v2, v1, v10
	s_waitcnt lgkmcnt(0)
	v_add_f32_e32 v0, v0, v12
	s_delay_alu instid0(VALU_DEP_1) | instskip(NEXT) | instid1(VALU_DEP_1)
	v_add_f32_e32 v0, v0, v13
	v_add_f32_e32 v0, v0, v14
	s_delay_alu instid0(VALU_DEP_1)
	v_add_f32_e32 v1, v0, v15
	v_add_f32_e32 v0, v2, v11
	s_cbranch_scc0 .LBB4_11
; %bb.12:
	s_delay_alu instid0(VALU_DEP_1) | instskip(SKIP_1) | instid1(VALU_DEP_1)
	v_div_scale_f32 v2, null, v0, v0, v1
	s_load_b32 s0, s[0:1], 0x28
	v_rcp_f32_e32 v3, v2
	s_waitcnt_depctr 0xfff
	v_fma_f32 v4, -v2, v3, 1.0
	s_delay_alu instid0(VALU_DEP_1) | instskip(SKIP_3) | instid1(VALU_DEP_1)
	v_fmac_f32_e32 v3, v4, v3
	v_div_scale_f32 v4, vcc_lo, v1, v0, v1
	s_waitcnt lgkmcnt(0)
	s_bitcmp1_b32 s0, 0
	v_mul_f32_e32 v5, v4, v3
	s_delay_alu instid0(VALU_DEP_1) | instskip(NEXT) | instid1(VALU_DEP_1)
	v_fma_f32 v6, -v2, v5, v4
	v_fmac_f32_e32 v5, v6, v3
	s_delay_alu instid0(VALU_DEP_1) | instskip(NEXT) | instid1(VALU_DEP_1)
	v_fma_f32 v2, -v2, v5, v4
	v_div_fmas_f32 v2, v2, v3, v5
	s_cselect_b32 vcc_lo, -1, 0
	v_mov_b32_e32 v3, 0
	s_delay_alu instid0(VALU_DEP_2) | instskip(NEXT) | instid1(VALU_DEP_1)
	v_div_fixup_f32 v2, v2, v0, v1
	v_cndmask_b32_e32 v1, v1, v2, vcc_lo
	s_clause 0x1
	global_store_b32 v3, v0, s[6:7]
	global_store_b32 v3, v1, s[4:5]
.LBB4_13:
	s_nop 0
	s_sendmsg sendmsg(MSG_DEALLOC_VGPRS)
	s_endpgm
	.section	.rodata,"a",@progbits
	.p2align	6, 0x0
	.amdhsa_kernel _Z32nll_loss_forward_reduce2d_kernelIffiLi1024EEvPT_S1_PKS0_PKT1_S3_blll
		.amdhsa_group_segment_fixed_size 8192
		.amdhsa_private_segment_fixed_size 0
		.amdhsa_kernarg_size 72
		.amdhsa_user_sgpr_count 15
		.amdhsa_user_sgpr_dispatch_ptr 0
		.amdhsa_user_sgpr_queue_ptr 0
		.amdhsa_user_sgpr_kernarg_segment_ptr 1
		.amdhsa_user_sgpr_dispatch_id 0
		.amdhsa_user_sgpr_private_segment_size 0
		.amdhsa_wavefront_size32 1
		.amdhsa_uses_dynamic_stack 0
		.amdhsa_enable_private_segment 0
		.amdhsa_system_sgpr_workgroup_id_x 1
		.amdhsa_system_sgpr_workgroup_id_y 0
		.amdhsa_system_sgpr_workgroup_id_z 0
		.amdhsa_system_sgpr_workgroup_info 0
		.amdhsa_system_vgpr_workitem_id 0
		.amdhsa_next_free_vgpr 19
		.amdhsa_next_free_sgpr 24
		.amdhsa_reserve_vcc 1
		.amdhsa_float_round_mode_32 0
		.amdhsa_float_round_mode_16_64 0
		.amdhsa_float_denorm_mode_32 3
		.amdhsa_float_denorm_mode_16_64 3
		.amdhsa_dx10_clamp 1
		.amdhsa_ieee_mode 1
		.amdhsa_fp16_overflow 0
		.amdhsa_workgroup_processor_mode 1
		.amdhsa_memory_ordered 1
		.amdhsa_forward_progress 0
		.amdhsa_shared_vgpr_count 0
		.amdhsa_exception_fp_ieee_invalid_op 0
		.amdhsa_exception_fp_denorm_src 0
		.amdhsa_exception_fp_ieee_div_zero 0
		.amdhsa_exception_fp_ieee_overflow 0
		.amdhsa_exception_fp_ieee_underflow 0
		.amdhsa_exception_fp_ieee_inexact 0
		.amdhsa_exception_int_div_zero 0
	.end_amdhsa_kernel
	.section	.text._Z32nll_loss_forward_reduce2d_kernelIffiLi1024EEvPT_S1_PKS0_PKT1_S3_blll,"axG",@progbits,_Z32nll_loss_forward_reduce2d_kernelIffiLi1024EEvPT_S1_PKS0_PKT1_S3_blll,comdat
.Lfunc_end4:
	.size	_Z32nll_loss_forward_reduce2d_kernelIffiLi1024EEvPT_S1_PKS0_PKT1_S3_blll, .Lfunc_end4-_Z32nll_loss_forward_reduce2d_kernelIffiLi1024EEvPT_S1_PKS0_PKT1_S3_blll
                                        ; -- End function
	.section	.AMDGPU.csdata,"",@progbits
; Kernel info:
; codeLenInByte = 920
; NumSgprs: 26
; NumVgprs: 19
; ScratchSize: 0
; MemoryBound: 0
; FloatMode: 240
; IeeeMode: 1
; LDSByteSize: 8192 bytes/workgroup (compile time only)
; SGPRBlocks: 3
; VGPRBlocks: 2
; NumSGPRsForWavesPerEU: 26
; NumVGPRsForWavesPerEU: 19
; Occupancy: 16
; WaveLimiterHint : 1
; COMPUTE_PGM_RSRC2:SCRATCH_EN: 0
; COMPUTE_PGM_RSRC2:USER_SGPR: 15
; COMPUTE_PGM_RSRC2:TRAP_HANDLER: 0
; COMPUTE_PGM_RSRC2:TGID_X_EN: 1
; COMPUTE_PGM_RSRC2:TGID_Y_EN: 0
; COMPUTE_PGM_RSRC2:TGID_Z_EN: 0
; COMPUTE_PGM_RSRC2:TIDIG_COMP_CNT: 0
	.section	.text._Z32nll_loss_forward_reduce2d_kernelI6__halfS0_iLi64EEvPT_S2_PKS1_PKT1_S4_blll,"axG",@progbits,_Z32nll_loss_forward_reduce2d_kernelI6__halfS0_iLi64EEvPT_S2_PKS1_PKT1_S4_blll,comdat
	.protected	_Z32nll_loss_forward_reduce2d_kernelI6__halfS0_iLi64EEvPT_S2_PKS1_PKT1_S4_blll ; -- Begin function _Z32nll_loss_forward_reduce2d_kernelI6__halfS0_iLi64EEvPT_S2_PKS1_PKT1_S4_blll
	.globl	_Z32nll_loss_forward_reduce2d_kernelI6__halfS0_iLi64EEvPT_S2_PKS1_PKT1_S4_blll
	.p2align	8
	.type	_Z32nll_loss_forward_reduce2d_kernelI6__halfS0_iLi64EEvPT_S2_PKS1_PKT1_S4_blll,@function
_Z32nll_loss_forward_reduce2d_kernelI6__halfS0_iLi64EEvPT_S2_PKS1_PKT1_S4_blll: ; @_Z32nll_loss_forward_reduce2d_kernelI6__halfS0_iLi64EEvPT_S2_PKS1_PKT1_S4_blll
; %bb.0:
	s_clause 0x1
	s_load_b128 s[8:11], s[0:1], 0x30
	s_load_b128 s[4:7], s[0:1], 0x0
	v_dual_mov_b32 v1, 0 :: v_dual_lshlrev_b32 v8, 1, v0
	s_mov_b32 s3, exec_lo
	ds_store_b16 v8, v1 offset:128
	ds_store_b16 v8, v1
	s_waitcnt lgkmcnt(0)
	v_cmpx_gt_i64_e64 s[8:9], v[0:1]
	s_cbranch_execz .LBB5_8
; %bb.1:
	v_mad_u64_u32 v[2:3], null, s10, v0, 0
	s_clause 0x2
	s_load_b64 s[12:13], s[0:1], 0x20
	s_load_b128 s[20:23], s[0:1], 0x10
	s_load_b64 s[14:15], s[0:1], 0x40
	v_dual_mov_b32 v10, v1 :: v_dual_add_nc_u32 v9, 0x80, v8
	s_mov_b32 s17, 0
	v_lshlrev_b32_e32 v6, 2, v0
	v_mad_u64_u32 v[4:5], null, s11, v0, v[3:4]
	s_delay_alu instid0(VALU_DEP_1) | instskip(SKIP_2) | instid1(VALU_DEP_1)
	v_mov_b32_e32 v3, v4
	s_waitcnt lgkmcnt(0)
	s_cmp_lg_u64 s[12:13], 0
	v_lshlrev_b64 v[4:5], 1, v[2:3]
	v_add_co_u32 v2, s2, s22, v6
	s_delay_alu instid0(VALU_DEP_1) | instskip(SKIP_1) | instid1(VALU_DEP_3)
	v_add_co_ci_u32_e64 v3, null, s23, 0, s2
	s_cselect_b32 s16, -1, 0
	v_add_co_u32 v11, vcc_lo, s20, v4
	s_delay_alu instid0(VALU_DEP_4)
	v_add_co_ci_u32_e32 v12, vcc_lo, s21, v5, vcc_lo
	v_dual_mov_b32 v5, v1 :: v_dual_mov_b32 v4, v0
	s_lshl_b64 s[10:11], s[10:11], 7
	s_set_inst_prefetch_distance 0x1
	s_branch .LBB5_5
	.p2align	6
.LBB5_2:                                ;   in Loop: Header=BB5_5 Depth=1
	s_delay_alu instid0(VALU_DEP_1) | instskip(NEXT) | instid1(VALU_DEP_2)
	v_add_co_u32 v13, vcc_lo, s12, v6
	v_add_co_ci_u32_e32 v14, vcc_lo, s13, v7, vcc_lo
	global_load_u16 v13, v[13:14], off
.LBB5_3:                                ;   in Loop: Header=BB5_5 Depth=1
	s_delay_alu instid0(VALU_DEP_2)
	v_add_co_u32 v6, vcc_lo, v11, v6
	v_add_co_ci_u32_e32 v7, vcc_lo, v12, v7, vcc_lo
	s_waitcnt vmcnt(0)
	v_add_f16_e32 v1, v13, v1
	global_load_u16 v6, v[6:7], off
	s_waitcnt vmcnt(0)
	v_fma_f16 v10, -v13, v6, v10
	ds_store_b16 v9, v10
	ds_store_b16 v8, v1
.LBB5_4:                                ;   in Loop: Header=BB5_5 Depth=1
	s_or_b32 exec_lo, exec_lo, s2
	v_add_co_u32 v4, vcc_lo, v4, 64
	v_add_co_ci_u32_e32 v5, vcc_lo, 0, v5, vcc_lo
	v_add_co_u32 v11, vcc_lo, v11, s10
	v_add_co_ci_u32_e32 v12, vcc_lo, s11, v12, vcc_lo
	s_delay_alu instid0(VALU_DEP_3) | instskip(SKIP_1) | instid1(VALU_DEP_1)
	v_cmp_le_i64_e32 vcc_lo, s[8:9], v[4:5]
	v_add_co_u32 v2, s2, 0x100, v2
	v_add_co_ci_u32_e64 v3, s2, 0, v3, s2
	s_or_b32 s17, vcc_lo, s17
	s_delay_alu instid0(SALU_CYCLE_1)
	s_and_not1_b32 exec_lo, exec_lo, s17
	s_cbranch_execz .LBB5_8
.LBB5_5:                                ; =>This Inner Loop Header: Depth=1
	global_load_b32 v6, v[2:3], off
	s_mov_b32 s2, exec_lo
	s_waitcnt vmcnt(0)
	v_ashrrev_i32_e32 v7, 31, v6
	s_delay_alu instid0(VALU_DEP_1)
	v_cmpx_ne_u64_e64 s[14:15], v[6:7]
	s_cbranch_execz .LBB5_4
; %bb.6:                                ;   in Loop: Header=BB5_5 Depth=1
	v_lshlrev_b64 v[6:7], 1, v[6:7]
	s_and_not1_b32 vcc_lo, exec_lo, s16
	s_cbranch_vccz .LBB5_2
; %bb.7:                                ;   in Loop: Header=BB5_5 Depth=1
	v_mov_b32_e32 v13, 0x3c00
	s_branch .LBB5_3
.LBB5_8:
	s_set_inst_prefetch_distance 0x2
	s_or_b32 exec_lo, exec_lo, s3
; %bb.9:
	s_waitcnt lgkmcnt(0)
	s_barrier
	buffer_gl0_inv
	s_mov_b32 s2, exec_lo
	v_cmpx_eq_u32_e32 0, v0
	s_cbranch_execz .LBB5_11
; %bb.10:
	v_mov_b32_e32 v0, 0
	s_load_b32 s0, s[0:1], 0x28
	ds_load_b128 v[1:4], v0
	ds_load_b128 v[5:8], v0 offset:128
	ds_load_b128 v[9:12], v0 offset:16
	;; [unrolled: 1-line block ×3, first 2 shown]
	s_waitcnt lgkmcnt(0)
	s_bitcmp1_b32 s0, 0
	s_cselect_b32 vcc_lo, -1, 0
	v_lshrrev_b32_e32 v17, 16, v1
	v_add_f16_e32 v1, 0, v1
	v_lshrrev_b32_e32 v18, 16, v5
	v_add_f16_e32 v5, 0, v5
	s_delay_alu instid0(VALU_DEP_3) | instskip(SKIP_1) | instid1(VALU_DEP_2)
	v_add_f16_e32 v1, v1, v17
	v_lshrrev_b32_e32 v17, 16, v2
	v_add_f16_e32 v1, v1, v2
	s_delay_alu instid0(VALU_DEP_4) | instskip(SKIP_1) | instid1(VALU_DEP_3)
	v_add_f16_e32 v2, v5, v18
	v_lshrrev_b32_e32 v5, 16, v6
	v_add_f16_e32 v1, v1, v17
	s_delay_alu instid0(VALU_DEP_3) | instskip(SKIP_1) | instid1(VALU_DEP_3)
	v_add_f16_e32 v2, v2, v6
	v_lshrrev_b32_e32 v6, 16, v3
	v_add_f16_e32 v1, v1, v3
	s_delay_alu instid0(VALU_DEP_3) | instskip(SKIP_2) | instid1(VALU_DEP_4)
	v_add_f16_e32 v2, v2, v5
	v_lshrrev_b32_e32 v3, 16, v7
	v_lshrrev_b32_e32 v5, 16, v4
	v_add_f16_e32 v1, v1, v6
	s_delay_alu instid0(VALU_DEP_4) | instskip(NEXT) | instid1(VALU_DEP_2)
	v_add_f16_e32 v2, v2, v7
	v_add_f16_e32 v1, v1, v4
	s_delay_alu instid0(VALU_DEP_2) | instskip(SKIP_2) | instid1(VALU_DEP_4)
	v_add_f16_e32 v2, v2, v3
	v_lshrrev_b32_e32 v3, 16, v8
	v_lshrrev_b32_e32 v4, 16, v9
	v_add_f16_e32 v1, v1, v5
	s_delay_alu instid0(VALU_DEP_4) | instskip(SKIP_1) | instid1(VALU_DEP_3)
	v_add_f16_e32 v2, v2, v8
	v_lshrrev_b32_e32 v5, 16, v14
	v_add_f16_e32 v1, v1, v9
	s_delay_alu instid0(VALU_DEP_3) | instskip(SKIP_2) | instid1(VALU_DEP_4)
	v_add_f16_e32 v2, v2, v3
	v_lshrrev_b32_e32 v3, 16, v13
	v_lshrrev_b32_e32 v9, 16, v11
	v_add_f16_e32 v1, v1, v4
	s_delay_alu instid0(VALU_DEP_4) | instskip(SKIP_2) | instid1(VALU_DEP_4)
	v_add_f16_e32 v2, v2, v13
	v_lshrrev_b32_e32 v4, 16, v10
	v_lshrrev_b32_e32 v13, 16, v15
	v_add_f16_e32 v1, v1, v10
	s_delay_alu instid0(VALU_DEP_4) | instskip(NEXT) | instid1(VALU_DEP_2)
	v_add_f16_e32 v2, v2, v3
	v_add_f16_e32 v6, v1, v4
	s_delay_alu instid0(VALU_DEP_2)
	v_add_f16_e32 v7, v2, v14
	ds_load_b128 v[1:4], v0 offset:32
	v_add_f16_e32 v10, v6, v11
	v_add_f16_e32 v11, v7, v5
	ds_load_b128 v[5:8], v0 offset:160
	v_add_f16_e32 v9, v10, v9
	v_add_f16_e32 v10, v11, v15
	v_lshrrev_b32_e32 v11, 16, v12
	s_delay_alu instid0(VALU_DEP_3) | instskip(NEXT) | instid1(VALU_DEP_3)
	v_add_f16_e32 v9, v9, v12
	v_add_f16_e32 v10, v10, v13
	v_lshrrev_b32_e32 v13, 16, v16
	s_delay_alu instid0(VALU_DEP_3) | instskip(NEXT) | instid1(VALU_DEP_3)
	v_add_f16_e32 v14, v9, v11
	v_add_f16_e32 v15, v10, v16
	ds_load_b128 v[9:12], v0 offset:48
	s_waitcnt lgkmcnt(2)
	v_lshrrev_b32_e32 v17, 16, v1
	v_add_f16_e32 v1, v14, v1
	v_add_f16_e32 v18, v15, v13
	ds_load_b128 v[13:16], v0 offset:176
	s_waitcnt lgkmcnt(2)
	v_lshrrev_b32_e32 v19, 16, v5
	v_add_f16_e32 v1, v1, v17
	v_add_f16_e32 v5, v18, v5
	v_lshrrev_b32_e32 v17, 16, v2
	s_delay_alu instid0(VALU_DEP_3) | instskip(NEXT) | instid1(VALU_DEP_3)
	v_add_f16_e32 v1, v1, v2
	v_add_f16_e32 v2, v5, v19
	v_lshrrev_b32_e32 v5, 16, v6
	s_delay_alu instid0(VALU_DEP_3) | instskip(NEXT) | instid1(VALU_DEP_3)
	;; [unrolled: 4-line block ×3, first 2 shown]
	v_add_f16_e32 v1, v1, v3
	v_add_f16_e32 v2, v2, v5
	v_lshrrev_b32_e32 v3, 16, v7
	v_lshrrev_b32_e32 v5, 16, v4
	s_delay_alu instid0(VALU_DEP_4) | instskip(NEXT) | instid1(VALU_DEP_4)
	v_add_f16_e32 v1, v1, v6
	v_add_f16_e32 v2, v2, v7
	s_delay_alu instid0(VALU_DEP_2) | instskip(NEXT) | instid1(VALU_DEP_2)
	v_add_f16_e32 v1, v1, v4
	v_add_f16_e32 v2, v2, v3
	v_lshrrev_b32_e32 v3, 16, v8
	s_waitcnt lgkmcnt(1)
	v_lshrrev_b32_e32 v4, 16, v9
	v_add_f16_e32 v1, v1, v5
	v_add_f16_e32 v2, v2, v8
	s_waitcnt lgkmcnt(0)
	v_lshrrev_b32_e32 v5, 16, v14
	s_delay_alu instid0(VALU_DEP_3) | instskip(NEXT) | instid1(VALU_DEP_3)
	v_add_f16_e32 v1, v1, v9
	v_add_f16_e32 v2, v2, v3
	v_lshrrev_b32_e32 v3, 16, v13
	v_lshrrev_b32_e32 v9, 16, v11
	s_delay_alu instid0(VALU_DEP_4) | instskip(NEXT) | instid1(VALU_DEP_4)
	v_add_f16_e32 v1, v1, v4
	v_add_f16_e32 v2, v2, v13
	v_lshrrev_b32_e32 v4, 16, v10
	v_lshrrev_b32_e32 v13, 16, v15
	s_delay_alu instid0(VALU_DEP_4) | instskip(NEXT) | instid1(VALU_DEP_4)
	v_add_f16_e32 v1, v1, v10
	v_add_f16_e32 v2, v2, v3
	s_delay_alu instid0(VALU_DEP_2) | instskip(NEXT) | instid1(VALU_DEP_2)
	v_add_f16_e32 v6, v1, v4
	v_add_f16_e32 v7, v2, v14
	ds_load_b128 v[1:4], v0 offset:64
	v_add_f16_e32 v10, v6, v11
	v_add_f16_e32 v11, v7, v5
	ds_load_b128 v[5:8], v0 offset:192
	v_add_f16_e32 v9, v10, v9
	v_add_f16_e32 v10, v11, v15
	v_lshrrev_b32_e32 v11, 16, v12
	s_delay_alu instid0(VALU_DEP_3) | instskip(NEXT) | instid1(VALU_DEP_3)
	v_add_f16_e32 v9, v9, v12
	v_add_f16_e32 v10, v10, v13
	v_lshrrev_b32_e32 v13, 16, v16
	s_delay_alu instid0(VALU_DEP_3) | instskip(NEXT) | instid1(VALU_DEP_3)
	v_add_f16_e32 v14, v9, v11
	v_add_f16_e32 v15, v10, v16
	ds_load_b128 v[9:12], v0 offset:80
	s_waitcnt lgkmcnt(2)
	v_lshrrev_b32_e32 v17, 16, v1
	v_add_f16_e32 v1, v14, v1
	v_add_f16_e32 v18, v15, v13
	ds_load_b128 v[13:16], v0 offset:208
	s_waitcnt lgkmcnt(2)
	v_lshrrev_b32_e32 v19, 16, v5
	v_add_f16_e32 v1, v1, v17
	v_add_f16_e32 v5, v18, v5
	v_lshrrev_b32_e32 v17, 16, v2
	s_delay_alu instid0(VALU_DEP_3) | instskip(NEXT) | instid1(VALU_DEP_3)
	v_add_f16_e32 v1, v1, v2
	v_add_f16_e32 v2, v5, v19
	v_lshrrev_b32_e32 v5, 16, v6
	s_delay_alu instid0(VALU_DEP_3) | instskip(NEXT) | instid1(VALU_DEP_3)
	;; [unrolled: 4-line block ×3, first 2 shown]
	v_add_f16_e32 v1, v1, v3
	v_add_f16_e32 v2, v2, v5
	v_lshrrev_b32_e32 v3, 16, v7
	v_lshrrev_b32_e32 v5, 16, v4
	s_delay_alu instid0(VALU_DEP_4) | instskip(NEXT) | instid1(VALU_DEP_4)
	v_add_f16_e32 v1, v1, v6
	v_add_f16_e32 v2, v2, v7
	s_delay_alu instid0(VALU_DEP_2) | instskip(NEXT) | instid1(VALU_DEP_2)
	v_add_f16_e32 v1, v1, v4
	v_add_f16_e32 v2, v2, v3
	v_lshrrev_b32_e32 v3, 16, v8
	s_waitcnt lgkmcnt(1)
	v_lshrrev_b32_e32 v4, 16, v9
	v_add_f16_e32 v1, v1, v5
	v_add_f16_e32 v2, v2, v8
	s_waitcnt lgkmcnt(0)
	v_lshrrev_b32_e32 v5, 16, v14
	v_lshrrev_b32_e32 v8, 16, v11
	v_add_f16_e32 v1, v1, v9
	v_add_f16_e32 v2, v2, v3
	v_lshrrev_b32_e32 v3, 16, v13
	v_lshrrev_b32_e32 v9, 16, v15
	s_delay_alu instid0(VALU_DEP_4) | instskip(NEXT) | instid1(VALU_DEP_4)
	v_add_f16_e32 v1, v1, v4
	v_add_f16_e32 v2, v2, v13
	v_lshrrev_b32_e32 v4, 16, v10
	v_lshrrev_b32_e32 v13, 16, v12
	s_delay_alu instid0(VALU_DEP_4) | instskip(NEXT) | instid1(VALU_DEP_4)
	v_add_f16_e32 v1, v1, v10
	v_add_f16_e32 v2, v2, v3
	s_delay_alu instid0(VALU_DEP_2) | instskip(NEXT) | instid1(VALU_DEP_2)
	v_add_f16_e32 v6, v1, v4
	v_add_f16_e32 v7, v2, v14
	ds_load_b128 v[1:4], v0 offset:96
	v_lshrrev_b32_e32 v14, 16, v16
	v_add_f16_e32 v6, v6, v11
	v_add_f16_e32 v5, v7, v5
	s_delay_alu instid0(VALU_DEP_2) | instskip(NEXT) | instid1(VALU_DEP_2)
	v_add_f16_e32 v10, v6, v8
	v_add_f16_e32 v11, v5, v15
	ds_load_b128 v[5:8], v0 offset:224
	v_add_f16_e32 v10, v10, v12
	v_add_f16_e32 v9, v11, v9
	s_delay_alu instid0(VALU_DEP_2) | instskip(NEXT) | instid1(VALU_DEP_2)
	v_add_f16_e32 v13, v10, v13
	v_add_f16_e32 v15, v9, v16
	ds_load_b128 v[9:12], v0 offset:112
	s_waitcnt lgkmcnt(2)
	v_lshrrev_b32_e32 v16, 16, v1
	v_add_f16_e32 v1, v13, v1
	v_add_f16_e32 v17, v15, v14
	s_delay_alu instid0(VALU_DEP_2)
	v_add_f16_e32 v1, v1, v16
	ds_load_b128 v[13:16], v0 offset:240
	s_waitcnt lgkmcnt(2)
	v_lshrrev_b32_e32 v18, 16, v5
	v_add_f16_e32 v5, v17, v5
	v_lshrrev_b32_e32 v17, 16, v2
	v_add_f16_e32 v1, v1, v2
	s_delay_alu instid0(VALU_DEP_3) | instskip(SKIP_1) | instid1(VALU_DEP_3)
	v_add_f16_e32 v2, v5, v18
	v_lshrrev_b32_e32 v5, 16, v6
	v_add_f16_e32 v1, v1, v17
	s_delay_alu instid0(VALU_DEP_3) | instskip(SKIP_1) | instid1(VALU_DEP_3)
	v_add_f16_e32 v2, v2, v6
	v_lshrrev_b32_e32 v6, 16, v3
	v_add_f16_e32 v1, v1, v3
	v_lshrrev_b32_e32 v3, 16, v7
	s_delay_alu instid0(VALU_DEP_4) | instskip(SKIP_1) | instid1(VALU_DEP_4)
	v_add_f16_e32 v2, v2, v5
	v_lshrrev_b32_e32 v5, 16, v4
	v_add_f16_e32 v1, v1, v6
	s_delay_alu instid0(VALU_DEP_3) | instskip(NEXT) | instid1(VALU_DEP_2)
	v_add_f16_e32 v2, v2, v7
	v_add_f16_e32 v1, v1, v4
	s_waitcnt lgkmcnt(1)
	v_lshrrev_b32_e32 v4, 16, v9
	s_delay_alu instid0(VALU_DEP_3) | instskip(SKIP_2) | instid1(VALU_DEP_3)
	v_add_f16_e32 v2, v2, v3
	v_lshrrev_b32_e32 v3, 16, v8
	v_add_f16_e32 v1, v1, v5
	v_add_f16_e32 v2, v2, v8
	s_delay_alu instid0(VALU_DEP_2) | instskip(NEXT) | instid1(VALU_DEP_2)
	v_add_f16_e32 v1, v1, v9
	v_add_f16_e32 v2, v2, v3
	s_waitcnt lgkmcnt(0)
	v_lshrrev_b32_e32 v3, 16, v13
	s_delay_alu instid0(VALU_DEP_3) | instskip(SKIP_2) | instid1(VALU_DEP_3)
	v_add_f16_e32 v1, v1, v4
	v_lshrrev_b32_e32 v4, 16, v10
	v_add_f16_e32 v2, v2, v13
	v_add_f16_e32 v1, v1, v10
	s_delay_alu instid0(VALU_DEP_2) | instskip(SKIP_1) | instid1(VALU_DEP_3)
	v_add_f16_e32 v2, v2, v3
	v_lshrrev_b32_e32 v3, 16, v14
	v_add_f16_e32 v1, v1, v4
	v_lshrrev_b32_e32 v4, 16, v11
	s_delay_alu instid0(VALU_DEP_4) | instskip(NEXT) | instid1(VALU_DEP_3)
	v_add_f16_e32 v2, v2, v14
	v_add_f16_e32 v1, v1, v11
	s_delay_alu instid0(VALU_DEP_2) | instskip(SKIP_1) | instid1(VALU_DEP_3)
	v_add_f16_e32 v2, v2, v3
	v_lshrrev_b32_e32 v3, 16, v15
	v_add_f16_e32 v1, v1, v4
	v_lshrrev_b32_e32 v4, 16, v12
	s_delay_alu instid0(VALU_DEP_4) | instskip(NEXT) | instid1(VALU_DEP_3)
	v_add_f16_e32 v2, v2, v15
	v_add_f16_e32 v1, v1, v12
	s_delay_alu instid0(VALU_DEP_2) | instskip(SKIP_1) | instid1(VALU_DEP_3)
	v_add_f16_e32 v2, v2, v3
	v_lshrrev_b32_e32 v3, 16, v16
	v_add_f16_e32 v1, v1, v4
	s_delay_alu instid0(VALU_DEP_3) | instskip(NEXT) | instid1(VALU_DEP_2)
	v_add_f16_e32 v2, v2, v16
	v_cvt_f32_f16_e32 v4, v1
	s_delay_alu instid0(VALU_DEP_2) | instskip(NEXT) | instid1(VALU_DEP_2)
	v_add_f16_e32 v2, v2, v3
	v_rcp_f32_e32 v3, v4
	s_delay_alu instid0(VALU_DEP_1) | instskip(SKIP_2) | instid1(VALU_DEP_1)
	v_cvt_f32_f16_e32 v4, v2
	s_waitcnt_depctr 0xfff
	v_mul_f32_e32 v4, v4, v3
	v_fma_mix_f32 v5, -v1, v4, v2 op_sel_hi:[1,0,1]
	s_delay_alu instid0(VALU_DEP_1) | instskip(NEXT) | instid1(VALU_DEP_1)
	v_fmac_f32_e32 v4, v5, v3
	v_fma_mix_f32 v5, -v1, v4, v2 op_sel_hi:[1,0,1]
	s_delay_alu instid0(VALU_DEP_1) | instskip(NEXT) | instid1(VALU_DEP_1)
	v_mul_f32_e32 v3, v5, v3
	v_and_b32_e32 v3, 0xff800000, v3
	s_delay_alu instid0(VALU_DEP_1) | instskip(NEXT) | instid1(VALU_DEP_1)
	v_add_f32_e32 v3, v3, v4
	v_cvt_f16_f32_e32 v3, v3
	s_delay_alu instid0(VALU_DEP_1) | instskip(NEXT) | instid1(VALU_DEP_1)
	v_div_fixup_f16 v3, v3, v1, v2
	v_cndmask_b32_e32 v2, v2, v3, vcc_lo
	s_clause 0x1
	global_store_b16 v0, v1, s[6:7]
	global_store_b16 v0, v2, s[4:5]
.LBB5_11:
	s_nop 0
	s_sendmsg sendmsg(MSG_DEALLOC_VGPRS)
	s_endpgm
	.section	.rodata,"a",@progbits
	.p2align	6, 0x0
	.amdhsa_kernel _Z32nll_loss_forward_reduce2d_kernelI6__halfS0_iLi64EEvPT_S2_PKS1_PKT1_S4_blll
		.amdhsa_group_segment_fixed_size 256
		.amdhsa_private_segment_fixed_size 0
		.amdhsa_kernarg_size 72
		.amdhsa_user_sgpr_count 15
		.amdhsa_user_sgpr_dispatch_ptr 0
		.amdhsa_user_sgpr_queue_ptr 0
		.amdhsa_user_sgpr_kernarg_segment_ptr 1
		.amdhsa_user_sgpr_dispatch_id 0
		.amdhsa_user_sgpr_private_segment_size 0
		.amdhsa_wavefront_size32 1
		.amdhsa_uses_dynamic_stack 0
		.amdhsa_enable_private_segment 0
		.amdhsa_system_sgpr_workgroup_id_x 1
		.amdhsa_system_sgpr_workgroup_id_y 0
		.amdhsa_system_sgpr_workgroup_id_z 0
		.amdhsa_system_sgpr_workgroup_info 0
		.amdhsa_system_vgpr_workitem_id 0
		.amdhsa_next_free_vgpr 20
		.amdhsa_next_free_sgpr 24
		.amdhsa_reserve_vcc 1
		.amdhsa_float_round_mode_32 0
		.amdhsa_float_round_mode_16_64 0
		.amdhsa_float_denorm_mode_32 3
		.amdhsa_float_denorm_mode_16_64 3
		.amdhsa_dx10_clamp 1
		.amdhsa_ieee_mode 1
		.amdhsa_fp16_overflow 0
		.amdhsa_workgroup_processor_mode 1
		.amdhsa_memory_ordered 1
		.amdhsa_forward_progress 0
		.amdhsa_shared_vgpr_count 0
		.amdhsa_exception_fp_ieee_invalid_op 0
		.amdhsa_exception_fp_denorm_src 0
		.amdhsa_exception_fp_ieee_div_zero 0
		.amdhsa_exception_fp_ieee_overflow 0
		.amdhsa_exception_fp_ieee_underflow 0
		.amdhsa_exception_fp_ieee_inexact 0
		.amdhsa_exception_int_div_zero 0
	.end_amdhsa_kernel
	.section	.text._Z32nll_loss_forward_reduce2d_kernelI6__halfS0_iLi64EEvPT_S2_PKS1_PKT1_S4_blll,"axG",@progbits,_Z32nll_loss_forward_reduce2d_kernelI6__halfS0_iLi64EEvPT_S2_PKS1_PKT1_S4_blll,comdat
.Lfunc_end5:
	.size	_Z32nll_loss_forward_reduce2d_kernelI6__halfS0_iLi64EEvPT_S2_PKS1_PKT1_S4_blll, .Lfunc_end5-_Z32nll_loss_forward_reduce2d_kernelI6__halfS0_iLi64EEvPT_S2_PKS1_PKT1_S4_blll
                                        ; -- End function
	.section	.AMDGPU.csdata,"",@progbits
; Kernel info:
; codeLenInByte = 1756
; NumSgprs: 26
; NumVgprs: 20
; ScratchSize: 0
; MemoryBound: 0
; FloatMode: 240
; IeeeMode: 1
; LDSByteSize: 256 bytes/workgroup (compile time only)
; SGPRBlocks: 3
; VGPRBlocks: 2
; NumSGPRsForWavesPerEU: 26
; NumVGPRsForWavesPerEU: 20
; Occupancy: 16
; WaveLimiterHint : 1
; COMPUTE_PGM_RSRC2:SCRATCH_EN: 0
; COMPUTE_PGM_RSRC2:USER_SGPR: 15
; COMPUTE_PGM_RSRC2:TRAP_HANDLER: 0
; COMPUTE_PGM_RSRC2:TGID_X_EN: 1
; COMPUTE_PGM_RSRC2:TGID_Y_EN: 0
; COMPUTE_PGM_RSRC2:TGID_Z_EN: 0
; COMPUTE_PGM_RSRC2:TIDIG_COMP_CNT: 0
	.section	.text._Z32nll_loss_forward_reduce2d_kernelI6__halfS0_iLi128EEvPT_S2_PKS1_PKT1_S4_blll,"axG",@progbits,_Z32nll_loss_forward_reduce2d_kernelI6__halfS0_iLi128EEvPT_S2_PKS1_PKT1_S4_blll,comdat
	.protected	_Z32nll_loss_forward_reduce2d_kernelI6__halfS0_iLi128EEvPT_S2_PKS1_PKT1_S4_blll ; -- Begin function _Z32nll_loss_forward_reduce2d_kernelI6__halfS0_iLi128EEvPT_S2_PKS1_PKT1_S4_blll
	.globl	_Z32nll_loss_forward_reduce2d_kernelI6__halfS0_iLi128EEvPT_S2_PKS1_PKT1_S4_blll
	.p2align	8
	.type	_Z32nll_loss_forward_reduce2d_kernelI6__halfS0_iLi128EEvPT_S2_PKS1_PKT1_S4_blll,@function
_Z32nll_loss_forward_reduce2d_kernelI6__halfS0_iLi128EEvPT_S2_PKS1_PKT1_S4_blll: ; @_Z32nll_loss_forward_reduce2d_kernelI6__halfS0_iLi128EEvPT_S2_PKS1_PKT1_S4_blll
; %bb.0:
	s_clause 0x1
	s_load_b128 s[8:11], s[0:1], 0x30
	s_load_b128 s[4:7], s[0:1], 0x0
	v_dual_mov_b32 v1, 0 :: v_dual_lshlrev_b32 v8, 1, v0
	s_mov_b32 s3, exec_lo
	ds_store_b16 v8, v1 offset:256
	ds_store_b16 v8, v1
	s_waitcnt lgkmcnt(0)
	v_cmpx_gt_i64_e64 s[8:9], v[0:1]
	s_cbranch_execz .LBB6_8
; %bb.1:
	v_mad_u64_u32 v[2:3], null, s10, v0, 0
	s_clause 0x2
	s_load_b64 s[12:13], s[0:1], 0x20
	s_load_b128 s[20:23], s[0:1], 0x10
	s_load_b64 s[14:15], s[0:1], 0x40
	v_dual_mov_b32 v10, v1 :: v_dual_add_nc_u32 v9, 0x100, v8
	s_mov_b32 s17, 0
	v_lshlrev_b32_e32 v6, 2, v0
	v_mad_u64_u32 v[4:5], null, s11, v0, v[3:4]
	s_delay_alu instid0(VALU_DEP_1) | instskip(SKIP_2) | instid1(VALU_DEP_1)
	v_mov_b32_e32 v3, v4
	s_waitcnt lgkmcnt(0)
	s_cmp_lg_u64 s[12:13], 0
	v_lshlrev_b64 v[4:5], 1, v[2:3]
	v_add_co_u32 v2, s2, s22, v6
	s_delay_alu instid0(VALU_DEP_1) | instskip(SKIP_1) | instid1(VALU_DEP_3)
	v_add_co_ci_u32_e64 v3, null, s23, 0, s2
	s_cselect_b32 s16, -1, 0
	v_add_co_u32 v11, vcc_lo, s20, v4
	s_delay_alu instid0(VALU_DEP_4)
	v_add_co_ci_u32_e32 v12, vcc_lo, s21, v5, vcc_lo
	v_dual_mov_b32 v5, v1 :: v_dual_mov_b32 v4, v0
	s_lshl_b64 s[10:11], s[10:11], 8
	s_set_inst_prefetch_distance 0x1
	s_branch .LBB6_5
	.p2align	6
.LBB6_2:                                ;   in Loop: Header=BB6_5 Depth=1
	s_delay_alu instid0(VALU_DEP_1) | instskip(NEXT) | instid1(VALU_DEP_2)
	v_add_co_u32 v13, vcc_lo, s12, v6
	v_add_co_ci_u32_e32 v14, vcc_lo, s13, v7, vcc_lo
	global_load_u16 v13, v[13:14], off
.LBB6_3:                                ;   in Loop: Header=BB6_5 Depth=1
	s_delay_alu instid0(VALU_DEP_2)
	v_add_co_u32 v6, vcc_lo, v11, v6
	v_add_co_ci_u32_e32 v7, vcc_lo, v12, v7, vcc_lo
	s_waitcnt vmcnt(0)
	v_add_f16_e32 v1, v13, v1
	global_load_u16 v6, v[6:7], off
	s_waitcnt vmcnt(0)
	v_fma_f16 v10, -v13, v6, v10
	ds_store_b16 v9, v10
	ds_store_b16 v8, v1
.LBB6_4:                                ;   in Loop: Header=BB6_5 Depth=1
	s_or_b32 exec_lo, exec_lo, s2
	v_add_co_u32 v4, vcc_lo, 0x80, v4
	v_add_co_ci_u32_e32 v5, vcc_lo, 0, v5, vcc_lo
	v_add_co_u32 v11, vcc_lo, v11, s10
	v_add_co_ci_u32_e32 v12, vcc_lo, s11, v12, vcc_lo
	s_delay_alu instid0(VALU_DEP_3) | instskip(SKIP_1) | instid1(VALU_DEP_1)
	v_cmp_le_i64_e32 vcc_lo, s[8:9], v[4:5]
	v_add_co_u32 v2, s2, 0x200, v2
	v_add_co_ci_u32_e64 v3, s2, 0, v3, s2
	s_or_b32 s17, vcc_lo, s17
	s_delay_alu instid0(SALU_CYCLE_1)
	s_and_not1_b32 exec_lo, exec_lo, s17
	s_cbranch_execz .LBB6_8
.LBB6_5:                                ; =>This Inner Loop Header: Depth=1
	global_load_b32 v6, v[2:3], off
	s_mov_b32 s2, exec_lo
	s_waitcnt vmcnt(0)
	v_ashrrev_i32_e32 v7, 31, v6
	s_delay_alu instid0(VALU_DEP_1)
	v_cmpx_ne_u64_e64 s[14:15], v[6:7]
	s_cbranch_execz .LBB6_4
; %bb.6:                                ;   in Loop: Header=BB6_5 Depth=1
	v_lshlrev_b64 v[6:7], 1, v[6:7]
	s_and_not1_b32 vcc_lo, exec_lo, s16
	s_cbranch_vccz .LBB6_2
; %bb.7:                                ;   in Loop: Header=BB6_5 Depth=1
	v_mov_b32_e32 v13, 0x3c00
	s_branch .LBB6_3
.LBB6_8:
	s_set_inst_prefetch_distance 0x2
	s_or_b32 exec_lo, exec_lo, s3
; %bb.9:
	s_waitcnt lgkmcnt(0)
	s_barrier
	buffer_gl0_inv
	s_mov_b32 s2, exec_lo
	v_cmpx_eq_u32_e32 0, v0
	s_cbranch_execz .LBB6_13
; %bb.10:
	v_dual_mov_b32 v0, 0 :: v_dual_mov_b32 v1, 0
	s_mov_b32 s2, 0
.LBB6_11:                               ; =>This Inner Loop Header: Depth=1
	s_delay_alu instid0(SALU_CYCLE_1)
	v_mov_b32_e32 v14, s2
	s_add_i32 s2, s2, 32
	ds_load_b128 v[2:5], v14 offset:256
	ds_load_b128 v[6:9], v14
	ds_load_b128 v[10:13], v14 offset:16
	ds_load_b128 v[14:17], v14 offset:272
	s_cmpk_eq_i32 s2, 0x100
	s_waitcnt lgkmcnt(3)
	v_lshrrev_b32_e32 v18, 16, v2
	v_add_f16_e32 v1, v1, v2
	s_waitcnt lgkmcnt(2)
	v_lshrrev_b32_e32 v2, 16, v6
	v_add_f16_e32 v0, v0, v6
	v_lshrrev_b32_e32 v6, 16, v7
	v_add_f16_e32 v1, v1, v18
	s_delay_alu instid0(VALU_DEP_3) | instskip(SKIP_1) | instid1(VALU_DEP_3)
	v_add_f16_e32 v0, v0, v2
	v_lshrrev_b32_e32 v2, 16, v3
	v_add_f16_e32 v1, v1, v3
	v_lshrrev_b32_e32 v3, 16, v8
	s_delay_alu instid0(VALU_DEP_4) | instskip(NEXT) | instid1(VALU_DEP_3)
	v_add_f16_e32 v0, v0, v7
	v_add_f16_e32 v1, v1, v2
	v_lshrrev_b32_e32 v2, 16, v4
	s_delay_alu instid0(VALU_DEP_3) | instskip(NEXT) | instid1(VALU_DEP_3)
	v_add_f16_e32 v0, v0, v6
	v_add_f16_e32 v1, v1, v4
	s_delay_alu instid0(VALU_DEP_2) | instskip(NEXT) | instid1(VALU_DEP_2)
	v_add_f16_e32 v0, v0, v8
	v_add_f16_e32 v1, v1, v2
	v_lshrrev_b32_e32 v2, 16, v5
	s_delay_alu instid0(VALU_DEP_3) | instskip(SKIP_1) | instid1(VALU_DEP_4)
	v_add_f16_e32 v0, v0, v3
	v_lshrrev_b32_e32 v3, 16, v9
	v_add_f16_e32 v1, v1, v5
	s_delay_alu instid0(VALU_DEP_3) | instskip(NEXT) | instid1(VALU_DEP_2)
	v_add_f16_e32 v0, v0, v9
	v_add_f16_e32 v1, v1, v2
	s_waitcnt lgkmcnt(0)
	v_lshrrev_b32_e32 v2, 16, v14
	s_delay_alu instid0(VALU_DEP_3) | instskip(SKIP_2) | instid1(VALU_DEP_3)
	v_add_f16_e32 v0, v0, v3
	v_lshrrev_b32_e32 v3, 16, v10
	v_add_f16_e32 v1, v1, v14
	v_add_f16_e32 v0, v0, v10
	s_delay_alu instid0(VALU_DEP_2) | instskip(SKIP_1) | instid1(VALU_DEP_3)
	v_add_f16_e32 v1, v1, v2
	v_lshrrev_b32_e32 v2, 16, v15
	v_add_f16_e32 v0, v0, v3
	v_lshrrev_b32_e32 v3, 16, v11
	s_delay_alu instid0(VALU_DEP_4) | instskip(NEXT) | instid1(VALU_DEP_3)
	v_add_f16_e32 v1, v1, v15
	v_add_f16_e32 v0, v0, v11
	s_delay_alu instid0(VALU_DEP_2) | instskip(SKIP_1) | instid1(VALU_DEP_3)
	v_add_f16_e32 v1, v1, v2
	v_lshrrev_b32_e32 v2, 16, v16
	v_add_f16_e32 v0, v0, v3
	v_lshrrev_b32_e32 v3, 16, v12
	s_delay_alu instid0(VALU_DEP_4) | instskip(NEXT) | instid1(VALU_DEP_3)
	;; [unrolled: 8-line block ×3, first 2 shown]
	v_add_f16_e32 v1, v1, v17
	v_add_f16_e32 v0, v0, v13
	s_delay_alu instid0(VALU_DEP_2) | instskip(NEXT) | instid1(VALU_DEP_2)
	v_add_f16_e32 v1, v1, v2
	v_add_f16_e32 v0, v0, v3
	s_cbranch_scc0 .LBB6_11
; %bb.12:
	s_delay_alu instid0(VALU_DEP_1) | instskip(NEXT) | instid1(VALU_DEP_3)
	v_cvt_f32_f16_e32 v2, v0
	v_cvt_f32_f16_e32 v3, v1
	s_load_b32 s0, s[0:1], 0x28
	s_delay_alu instid0(VALU_DEP_2) | instskip(SKIP_2) | instid1(VALU_DEP_1)
	v_rcp_f32_e32 v2, v2
	s_waitcnt_depctr 0xfff
	v_mul_f32_e32 v3, v3, v2
	v_fma_mix_f32 v4, -v0, v3, v1 op_sel_hi:[1,0,1]
	s_waitcnt lgkmcnt(0)
	s_bitcmp1_b32 s0, 0
	s_cselect_b32 vcc_lo, -1, 0
	s_delay_alu instid0(VALU_DEP_1) | instskip(NEXT) | instid1(VALU_DEP_1)
	v_fmac_f32_e32 v3, v4, v2
	v_fma_mix_f32 v4, -v0, v3, v1 op_sel_hi:[1,0,1]
	s_delay_alu instid0(VALU_DEP_1) | instskip(NEXT) | instid1(VALU_DEP_1)
	v_mul_f32_e32 v2, v4, v2
	v_and_b32_e32 v2, 0xff800000, v2
	s_delay_alu instid0(VALU_DEP_1) | instskip(NEXT) | instid1(VALU_DEP_1)
	v_dual_add_f32 v2, v2, v3 :: v_dual_mov_b32 v3, 0
	v_cvt_f16_f32_e32 v2, v2
	s_delay_alu instid0(VALU_DEP_1) | instskip(NEXT) | instid1(VALU_DEP_1)
	v_div_fixup_f16 v2, v2, v0, v1
	v_cndmask_b32_e32 v1, v1, v2, vcc_lo
	s_clause 0x1
	global_store_b16 v3, v0, s[6:7]
	global_store_b16 v3, v1, s[4:5]
.LBB6_13:
	s_nop 0
	s_sendmsg sendmsg(MSG_DEALLOC_VGPRS)
	s_endpgm
	.section	.rodata,"a",@progbits
	.p2align	6, 0x0
	.amdhsa_kernel _Z32nll_loss_forward_reduce2d_kernelI6__halfS0_iLi128EEvPT_S2_PKS1_PKT1_S4_blll
		.amdhsa_group_segment_fixed_size 512
		.amdhsa_private_segment_fixed_size 0
		.amdhsa_kernarg_size 72
		.amdhsa_user_sgpr_count 15
		.amdhsa_user_sgpr_dispatch_ptr 0
		.amdhsa_user_sgpr_queue_ptr 0
		.amdhsa_user_sgpr_kernarg_segment_ptr 1
		.amdhsa_user_sgpr_dispatch_id 0
		.amdhsa_user_sgpr_private_segment_size 0
		.amdhsa_wavefront_size32 1
		.amdhsa_uses_dynamic_stack 0
		.amdhsa_enable_private_segment 0
		.amdhsa_system_sgpr_workgroup_id_x 1
		.amdhsa_system_sgpr_workgroup_id_y 0
		.amdhsa_system_sgpr_workgroup_id_z 0
		.amdhsa_system_sgpr_workgroup_info 0
		.amdhsa_system_vgpr_workitem_id 0
		.amdhsa_next_free_vgpr 19
		.amdhsa_next_free_sgpr 24
		.amdhsa_reserve_vcc 1
		.amdhsa_float_round_mode_32 0
		.amdhsa_float_round_mode_16_64 0
		.amdhsa_float_denorm_mode_32 3
		.amdhsa_float_denorm_mode_16_64 3
		.amdhsa_dx10_clamp 1
		.amdhsa_ieee_mode 1
		.amdhsa_fp16_overflow 0
		.amdhsa_workgroup_processor_mode 1
		.amdhsa_memory_ordered 1
		.amdhsa_forward_progress 0
		.amdhsa_shared_vgpr_count 0
		.amdhsa_exception_fp_ieee_invalid_op 0
		.amdhsa_exception_fp_denorm_src 0
		.amdhsa_exception_fp_ieee_div_zero 0
		.amdhsa_exception_fp_ieee_overflow 0
		.amdhsa_exception_fp_ieee_underflow 0
		.amdhsa_exception_fp_ieee_inexact 0
		.amdhsa_exception_int_div_zero 0
	.end_amdhsa_kernel
	.section	.text._Z32nll_loss_forward_reduce2d_kernelI6__halfS0_iLi128EEvPT_S2_PKS1_PKT1_S4_blll,"axG",@progbits,_Z32nll_loss_forward_reduce2d_kernelI6__halfS0_iLi128EEvPT_S2_PKS1_PKT1_S4_blll,comdat
.Lfunc_end6:
	.size	_Z32nll_loss_forward_reduce2d_kernelI6__halfS0_iLi128EEvPT_S2_PKS1_PKT1_S4_blll, .Lfunc_end6-_Z32nll_loss_forward_reduce2d_kernelI6__halfS0_iLi128EEvPT_S2_PKS1_PKT1_S4_blll
                                        ; -- End function
	.section	.AMDGPU.csdata,"",@progbits
; Kernel info:
; codeLenInByte = 948
; NumSgprs: 26
; NumVgprs: 19
; ScratchSize: 0
; MemoryBound: 0
; FloatMode: 240
; IeeeMode: 1
; LDSByteSize: 512 bytes/workgroup (compile time only)
; SGPRBlocks: 3
; VGPRBlocks: 2
; NumSGPRsForWavesPerEU: 26
; NumVGPRsForWavesPerEU: 19
; Occupancy: 16
; WaveLimiterHint : 1
; COMPUTE_PGM_RSRC2:SCRATCH_EN: 0
; COMPUTE_PGM_RSRC2:USER_SGPR: 15
; COMPUTE_PGM_RSRC2:TRAP_HANDLER: 0
; COMPUTE_PGM_RSRC2:TGID_X_EN: 1
; COMPUTE_PGM_RSRC2:TGID_Y_EN: 0
; COMPUTE_PGM_RSRC2:TGID_Z_EN: 0
; COMPUTE_PGM_RSRC2:TIDIG_COMP_CNT: 0
	.section	.text._Z32nll_loss_forward_reduce2d_kernelI6__halfS0_iLi256EEvPT_S2_PKS1_PKT1_S4_blll,"axG",@progbits,_Z32nll_loss_forward_reduce2d_kernelI6__halfS0_iLi256EEvPT_S2_PKS1_PKT1_S4_blll,comdat
	.protected	_Z32nll_loss_forward_reduce2d_kernelI6__halfS0_iLi256EEvPT_S2_PKS1_PKT1_S4_blll ; -- Begin function _Z32nll_loss_forward_reduce2d_kernelI6__halfS0_iLi256EEvPT_S2_PKS1_PKT1_S4_blll
	.globl	_Z32nll_loss_forward_reduce2d_kernelI6__halfS0_iLi256EEvPT_S2_PKS1_PKT1_S4_blll
	.p2align	8
	.type	_Z32nll_loss_forward_reduce2d_kernelI6__halfS0_iLi256EEvPT_S2_PKS1_PKT1_S4_blll,@function
_Z32nll_loss_forward_reduce2d_kernelI6__halfS0_iLi256EEvPT_S2_PKS1_PKT1_S4_blll: ; @_Z32nll_loss_forward_reduce2d_kernelI6__halfS0_iLi256EEvPT_S2_PKS1_PKT1_S4_blll
; %bb.0:
	s_clause 0x1
	s_load_b128 s[8:11], s[0:1], 0x30
	s_load_b128 s[4:7], s[0:1], 0x0
	v_dual_mov_b32 v1, 0 :: v_dual_lshlrev_b32 v8, 1, v0
	s_mov_b32 s3, exec_lo
	ds_store_b16 v8, v1 offset:512
	ds_store_b16 v8, v1
	s_waitcnt lgkmcnt(0)
	v_cmpx_gt_i64_e64 s[8:9], v[0:1]
	s_cbranch_execz .LBB7_8
; %bb.1:
	v_mad_u64_u32 v[2:3], null, s10, v0, 0
	s_clause 0x2
	s_load_b64 s[12:13], s[0:1], 0x20
	s_load_b128 s[20:23], s[0:1], 0x10
	s_load_b64 s[14:15], s[0:1], 0x40
	v_dual_mov_b32 v10, v1 :: v_dual_add_nc_u32 v9, 0x200, v8
	s_mov_b32 s17, 0
	v_lshlrev_b32_e32 v6, 2, v0
	v_mad_u64_u32 v[4:5], null, s11, v0, v[3:4]
	s_delay_alu instid0(VALU_DEP_1) | instskip(SKIP_2) | instid1(VALU_DEP_1)
	v_mov_b32_e32 v3, v4
	s_waitcnt lgkmcnt(0)
	s_cmp_lg_u64 s[12:13], 0
	v_lshlrev_b64 v[4:5], 1, v[2:3]
	v_add_co_u32 v2, s2, s22, v6
	s_delay_alu instid0(VALU_DEP_1) | instskip(SKIP_1) | instid1(VALU_DEP_3)
	v_add_co_ci_u32_e64 v3, null, s23, 0, s2
	s_cselect_b32 s16, -1, 0
	v_add_co_u32 v11, vcc_lo, s20, v4
	s_delay_alu instid0(VALU_DEP_4)
	v_add_co_ci_u32_e32 v12, vcc_lo, s21, v5, vcc_lo
	v_dual_mov_b32 v5, v1 :: v_dual_mov_b32 v4, v0
	s_lshl_b64 s[10:11], s[10:11], 9
	s_set_inst_prefetch_distance 0x1
	s_branch .LBB7_5
	.p2align	6
.LBB7_2:                                ;   in Loop: Header=BB7_5 Depth=1
	s_delay_alu instid0(VALU_DEP_1) | instskip(NEXT) | instid1(VALU_DEP_2)
	v_add_co_u32 v13, vcc_lo, s12, v6
	v_add_co_ci_u32_e32 v14, vcc_lo, s13, v7, vcc_lo
	global_load_u16 v13, v[13:14], off
.LBB7_3:                                ;   in Loop: Header=BB7_5 Depth=1
	s_delay_alu instid0(VALU_DEP_2)
	v_add_co_u32 v6, vcc_lo, v11, v6
	v_add_co_ci_u32_e32 v7, vcc_lo, v12, v7, vcc_lo
	s_waitcnt vmcnt(0)
	v_add_f16_e32 v1, v13, v1
	global_load_u16 v6, v[6:7], off
	s_waitcnt vmcnt(0)
	v_fma_f16 v10, -v13, v6, v10
	ds_store_b16 v9, v10
	ds_store_b16 v8, v1
.LBB7_4:                                ;   in Loop: Header=BB7_5 Depth=1
	s_or_b32 exec_lo, exec_lo, s2
	v_add_co_u32 v4, vcc_lo, 0x100, v4
	v_add_co_ci_u32_e32 v5, vcc_lo, 0, v5, vcc_lo
	v_add_co_u32 v11, vcc_lo, v11, s10
	v_add_co_ci_u32_e32 v12, vcc_lo, s11, v12, vcc_lo
	s_delay_alu instid0(VALU_DEP_3) | instskip(SKIP_1) | instid1(VALU_DEP_1)
	v_cmp_le_i64_e32 vcc_lo, s[8:9], v[4:5]
	v_add_co_u32 v2, s2, 0x400, v2
	v_add_co_ci_u32_e64 v3, s2, 0, v3, s2
	s_or_b32 s17, vcc_lo, s17
	s_delay_alu instid0(SALU_CYCLE_1)
	s_and_not1_b32 exec_lo, exec_lo, s17
	s_cbranch_execz .LBB7_8
.LBB7_5:                                ; =>This Inner Loop Header: Depth=1
	global_load_b32 v6, v[2:3], off
	s_mov_b32 s2, exec_lo
	s_waitcnt vmcnt(0)
	v_ashrrev_i32_e32 v7, 31, v6
	s_delay_alu instid0(VALU_DEP_1)
	v_cmpx_ne_u64_e64 s[14:15], v[6:7]
	s_cbranch_execz .LBB7_4
; %bb.6:                                ;   in Loop: Header=BB7_5 Depth=1
	v_lshlrev_b64 v[6:7], 1, v[6:7]
	s_and_not1_b32 vcc_lo, exec_lo, s16
	s_cbranch_vccz .LBB7_2
; %bb.7:                                ;   in Loop: Header=BB7_5 Depth=1
	v_mov_b32_e32 v13, 0x3c00
	s_branch .LBB7_3
.LBB7_8:
	s_set_inst_prefetch_distance 0x2
	s_or_b32 exec_lo, exec_lo, s3
; %bb.9:
	s_waitcnt lgkmcnt(0)
	s_barrier
	buffer_gl0_inv
	s_mov_b32 s2, exec_lo
	v_cmpx_eq_u32_e32 0, v0
	s_cbranch_execz .LBB7_13
; %bb.10:
	v_dual_mov_b32 v0, 0 :: v_dual_mov_b32 v1, 0
	s_mov_b32 s2, 0
.LBB7_11:                               ; =>This Inner Loop Header: Depth=1
	s_delay_alu instid0(SALU_CYCLE_1)
	v_mov_b32_e32 v14, s2
	s_add_i32 s2, s2, 32
	ds_load_b128 v[2:5], v14 offset:512
	ds_load_b128 v[6:9], v14
	ds_load_b128 v[10:13], v14 offset:16
	ds_load_b128 v[14:17], v14 offset:528
	s_cmpk_eq_i32 s2, 0x200
	s_waitcnt lgkmcnt(3)
	v_lshrrev_b32_e32 v18, 16, v2
	v_add_f16_e32 v1, v1, v2
	s_waitcnt lgkmcnt(2)
	v_lshrrev_b32_e32 v2, 16, v6
	v_add_f16_e32 v0, v0, v6
	v_lshrrev_b32_e32 v6, 16, v7
	v_add_f16_e32 v1, v1, v18
	s_delay_alu instid0(VALU_DEP_3) | instskip(SKIP_1) | instid1(VALU_DEP_3)
	v_add_f16_e32 v0, v0, v2
	v_lshrrev_b32_e32 v2, 16, v3
	v_add_f16_e32 v1, v1, v3
	v_lshrrev_b32_e32 v3, 16, v8
	s_delay_alu instid0(VALU_DEP_4) | instskip(NEXT) | instid1(VALU_DEP_3)
	v_add_f16_e32 v0, v0, v7
	v_add_f16_e32 v1, v1, v2
	v_lshrrev_b32_e32 v2, 16, v4
	s_delay_alu instid0(VALU_DEP_3) | instskip(NEXT) | instid1(VALU_DEP_3)
	v_add_f16_e32 v0, v0, v6
	v_add_f16_e32 v1, v1, v4
	s_delay_alu instid0(VALU_DEP_2) | instskip(NEXT) | instid1(VALU_DEP_2)
	v_add_f16_e32 v0, v0, v8
	v_add_f16_e32 v1, v1, v2
	v_lshrrev_b32_e32 v2, 16, v5
	s_delay_alu instid0(VALU_DEP_3) | instskip(SKIP_1) | instid1(VALU_DEP_4)
	v_add_f16_e32 v0, v0, v3
	v_lshrrev_b32_e32 v3, 16, v9
	v_add_f16_e32 v1, v1, v5
	s_delay_alu instid0(VALU_DEP_3) | instskip(NEXT) | instid1(VALU_DEP_2)
	v_add_f16_e32 v0, v0, v9
	v_add_f16_e32 v1, v1, v2
	s_waitcnt lgkmcnt(0)
	v_lshrrev_b32_e32 v2, 16, v14
	s_delay_alu instid0(VALU_DEP_3) | instskip(SKIP_2) | instid1(VALU_DEP_3)
	v_add_f16_e32 v0, v0, v3
	v_lshrrev_b32_e32 v3, 16, v10
	v_add_f16_e32 v1, v1, v14
	v_add_f16_e32 v0, v0, v10
	s_delay_alu instid0(VALU_DEP_2) | instskip(SKIP_1) | instid1(VALU_DEP_3)
	v_add_f16_e32 v1, v1, v2
	v_lshrrev_b32_e32 v2, 16, v15
	v_add_f16_e32 v0, v0, v3
	v_lshrrev_b32_e32 v3, 16, v11
	s_delay_alu instid0(VALU_DEP_4) | instskip(NEXT) | instid1(VALU_DEP_3)
	v_add_f16_e32 v1, v1, v15
	v_add_f16_e32 v0, v0, v11
	s_delay_alu instid0(VALU_DEP_2) | instskip(SKIP_1) | instid1(VALU_DEP_3)
	v_add_f16_e32 v1, v1, v2
	v_lshrrev_b32_e32 v2, 16, v16
	v_add_f16_e32 v0, v0, v3
	v_lshrrev_b32_e32 v3, 16, v12
	s_delay_alu instid0(VALU_DEP_4) | instskip(NEXT) | instid1(VALU_DEP_3)
	;; [unrolled: 8-line block ×3, first 2 shown]
	v_add_f16_e32 v1, v1, v17
	v_add_f16_e32 v0, v0, v13
	s_delay_alu instid0(VALU_DEP_2) | instskip(NEXT) | instid1(VALU_DEP_2)
	v_add_f16_e32 v1, v1, v2
	v_add_f16_e32 v0, v0, v3
	s_cbranch_scc0 .LBB7_11
; %bb.12:
	s_delay_alu instid0(VALU_DEP_1) | instskip(NEXT) | instid1(VALU_DEP_3)
	v_cvt_f32_f16_e32 v2, v0
	v_cvt_f32_f16_e32 v3, v1
	s_load_b32 s0, s[0:1], 0x28
	s_delay_alu instid0(VALU_DEP_2) | instskip(SKIP_2) | instid1(VALU_DEP_1)
	v_rcp_f32_e32 v2, v2
	s_waitcnt_depctr 0xfff
	v_mul_f32_e32 v3, v3, v2
	v_fma_mix_f32 v4, -v0, v3, v1 op_sel_hi:[1,0,1]
	s_waitcnt lgkmcnt(0)
	s_bitcmp1_b32 s0, 0
	s_cselect_b32 vcc_lo, -1, 0
	s_delay_alu instid0(VALU_DEP_1) | instskip(NEXT) | instid1(VALU_DEP_1)
	v_fmac_f32_e32 v3, v4, v2
	v_fma_mix_f32 v4, -v0, v3, v1 op_sel_hi:[1,0,1]
	s_delay_alu instid0(VALU_DEP_1) | instskip(NEXT) | instid1(VALU_DEP_1)
	v_mul_f32_e32 v2, v4, v2
	v_and_b32_e32 v2, 0xff800000, v2
	s_delay_alu instid0(VALU_DEP_1) | instskip(NEXT) | instid1(VALU_DEP_1)
	v_dual_add_f32 v2, v2, v3 :: v_dual_mov_b32 v3, 0
	v_cvt_f16_f32_e32 v2, v2
	s_delay_alu instid0(VALU_DEP_1) | instskip(NEXT) | instid1(VALU_DEP_1)
	v_div_fixup_f16 v2, v2, v0, v1
	v_cndmask_b32_e32 v1, v1, v2, vcc_lo
	s_clause 0x1
	global_store_b16 v3, v0, s[6:7]
	global_store_b16 v3, v1, s[4:5]
.LBB7_13:
	s_nop 0
	s_sendmsg sendmsg(MSG_DEALLOC_VGPRS)
	s_endpgm
	.section	.rodata,"a",@progbits
	.p2align	6, 0x0
	.amdhsa_kernel _Z32nll_loss_forward_reduce2d_kernelI6__halfS0_iLi256EEvPT_S2_PKS1_PKT1_S4_blll
		.amdhsa_group_segment_fixed_size 1024
		.amdhsa_private_segment_fixed_size 0
		.amdhsa_kernarg_size 72
		.amdhsa_user_sgpr_count 15
		.amdhsa_user_sgpr_dispatch_ptr 0
		.amdhsa_user_sgpr_queue_ptr 0
		.amdhsa_user_sgpr_kernarg_segment_ptr 1
		.amdhsa_user_sgpr_dispatch_id 0
		.amdhsa_user_sgpr_private_segment_size 0
		.amdhsa_wavefront_size32 1
		.amdhsa_uses_dynamic_stack 0
		.amdhsa_enable_private_segment 0
		.amdhsa_system_sgpr_workgroup_id_x 1
		.amdhsa_system_sgpr_workgroup_id_y 0
		.amdhsa_system_sgpr_workgroup_id_z 0
		.amdhsa_system_sgpr_workgroup_info 0
		.amdhsa_system_vgpr_workitem_id 0
		.amdhsa_next_free_vgpr 19
		.amdhsa_next_free_sgpr 24
		.amdhsa_reserve_vcc 1
		.amdhsa_float_round_mode_32 0
		.amdhsa_float_round_mode_16_64 0
		.amdhsa_float_denorm_mode_32 3
		.amdhsa_float_denorm_mode_16_64 3
		.amdhsa_dx10_clamp 1
		.amdhsa_ieee_mode 1
		.amdhsa_fp16_overflow 0
		.amdhsa_workgroup_processor_mode 1
		.amdhsa_memory_ordered 1
		.amdhsa_forward_progress 0
		.amdhsa_shared_vgpr_count 0
		.amdhsa_exception_fp_ieee_invalid_op 0
		.amdhsa_exception_fp_denorm_src 0
		.amdhsa_exception_fp_ieee_div_zero 0
		.amdhsa_exception_fp_ieee_overflow 0
		.amdhsa_exception_fp_ieee_underflow 0
		.amdhsa_exception_fp_ieee_inexact 0
		.amdhsa_exception_int_div_zero 0
	.end_amdhsa_kernel
	.section	.text._Z32nll_loss_forward_reduce2d_kernelI6__halfS0_iLi256EEvPT_S2_PKS1_PKT1_S4_blll,"axG",@progbits,_Z32nll_loss_forward_reduce2d_kernelI6__halfS0_iLi256EEvPT_S2_PKS1_PKT1_S4_blll,comdat
.Lfunc_end7:
	.size	_Z32nll_loss_forward_reduce2d_kernelI6__halfS0_iLi256EEvPT_S2_PKS1_PKT1_S4_blll, .Lfunc_end7-_Z32nll_loss_forward_reduce2d_kernelI6__halfS0_iLi256EEvPT_S2_PKS1_PKT1_S4_blll
                                        ; -- End function
	.section	.AMDGPU.csdata,"",@progbits
; Kernel info:
; codeLenInByte = 948
; NumSgprs: 26
; NumVgprs: 19
; ScratchSize: 0
; MemoryBound: 0
; FloatMode: 240
; IeeeMode: 1
; LDSByteSize: 1024 bytes/workgroup (compile time only)
; SGPRBlocks: 3
; VGPRBlocks: 2
; NumSGPRsForWavesPerEU: 26
; NumVGPRsForWavesPerEU: 19
; Occupancy: 16
; WaveLimiterHint : 1
; COMPUTE_PGM_RSRC2:SCRATCH_EN: 0
; COMPUTE_PGM_RSRC2:USER_SGPR: 15
; COMPUTE_PGM_RSRC2:TRAP_HANDLER: 0
; COMPUTE_PGM_RSRC2:TGID_X_EN: 1
; COMPUTE_PGM_RSRC2:TGID_Y_EN: 0
; COMPUTE_PGM_RSRC2:TGID_Z_EN: 0
; COMPUTE_PGM_RSRC2:TIDIG_COMP_CNT: 0
	.section	.text._Z32nll_loss_forward_reduce2d_kernelI6__halfS0_iLi512EEvPT_S2_PKS1_PKT1_S4_blll,"axG",@progbits,_Z32nll_loss_forward_reduce2d_kernelI6__halfS0_iLi512EEvPT_S2_PKS1_PKT1_S4_blll,comdat
	.protected	_Z32nll_loss_forward_reduce2d_kernelI6__halfS0_iLi512EEvPT_S2_PKS1_PKT1_S4_blll ; -- Begin function _Z32nll_loss_forward_reduce2d_kernelI6__halfS0_iLi512EEvPT_S2_PKS1_PKT1_S4_blll
	.globl	_Z32nll_loss_forward_reduce2d_kernelI6__halfS0_iLi512EEvPT_S2_PKS1_PKT1_S4_blll
	.p2align	8
	.type	_Z32nll_loss_forward_reduce2d_kernelI6__halfS0_iLi512EEvPT_S2_PKS1_PKT1_S4_blll,@function
_Z32nll_loss_forward_reduce2d_kernelI6__halfS0_iLi512EEvPT_S2_PKS1_PKT1_S4_blll: ; @_Z32nll_loss_forward_reduce2d_kernelI6__halfS0_iLi512EEvPT_S2_PKS1_PKT1_S4_blll
; %bb.0:
	s_clause 0x1
	s_load_b128 s[8:11], s[0:1], 0x30
	s_load_b128 s[4:7], s[0:1], 0x0
	v_dual_mov_b32 v1, 0 :: v_dual_lshlrev_b32 v8, 1, v0
	s_mov_b32 s3, exec_lo
	ds_store_b16 v8, v1 offset:1024
	ds_store_b16 v8, v1
	s_waitcnt lgkmcnt(0)
	v_cmpx_gt_i64_e64 s[8:9], v[0:1]
	s_cbranch_execz .LBB8_8
; %bb.1:
	v_mad_u64_u32 v[2:3], null, s10, v0, 0
	s_clause 0x2
	s_load_b64 s[12:13], s[0:1], 0x20
	s_load_b128 s[20:23], s[0:1], 0x10
	s_load_b64 s[14:15], s[0:1], 0x40
	v_dual_mov_b32 v10, v1 :: v_dual_add_nc_u32 v9, 0x400, v8
	s_mov_b32 s17, 0
	v_lshlrev_b32_e32 v6, 2, v0
	v_mad_u64_u32 v[4:5], null, s11, v0, v[3:4]
	s_delay_alu instid0(VALU_DEP_1) | instskip(SKIP_2) | instid1(VALU_DEP_1)
	v_mov_b32_e32 v3, v4
	s_waitcnt lgkmcnt(0)
	s_cmp_lg_u64 s[12:13], 0
	v_lshlrev_b64 v[4:5], 1, v[2:3]
	v_add_co_u32 v2, s2, s22, v6
	s_delay_alu instid0(VALU_DEP_1) | instskip(SKIP_1) | instid1(VALU_DEP_3)
	v_add_co_ci_u32_e64 v3, null, s23, 0, s2
	s_cselect_b32 s16, -1, 0
	v_add_co_u32 v11, vcc_lo, s20, v4
	s_delay_alu instid0(VALU_DEP_4)
	v_add_co_ci_u32_e32 v12, vcc_lo, s21, v5, vcc_lo
	v_dual_mov_b32 v5, v1 :: v_dual_mov_b32 v4, v0
	s_lshl_b64 s[10:11], s[10:11], 10
	s_set_inst_prefetch_distance 0x1
	s_branch .LBB8_5
	.p2align	6
.LBB8_2:                                ;   in Loop: Header=BB8_5 Depth=1
	s_delay_alu instid0(VALU_DEP_1) | instskip(NEXT) | instid1(VALU_DEP_2)
	v_add_co_u32 v13, vcc_lo, s12, v6
	v_add_co_ci_u32_e32 v14, vcc_lo, s13, v7, vcc_lo
	global_load_u16 v13, v[13:14], off
.LBB8_3:                                ;   in Loop: Header=BB8_5 Depth=1
	s_delay_alu instid0(VALU_DEP_2)
	v_add_co_u32 v6, vcc_lo, v11, v6
	v_add_co_ci_u32_e32 v7, vcc_lo, v12, v7, vcc_lo
	s_waitcnt vmcnt(0)
	v_add_f16_e32 v1, v13, v1
	global_load_u16 v6, v[6:7], off
	s_waitcnt vmcnt(0)
	v_fma_f16 v10, -v13, v6, v10
	ds_store_b16 v9, v10
	ds_store_b16 v8, v1
.LBB8_4:                                ;   in Loop: Header=BB8_5 Depth=1
	s_or_b32 exec_lo, exec_lo, s2
	v_add_co_u32 v4, vcc_lo, 0x200, v4
	v_add_co_ci_u32_e32 v5, vcc_lo, 0, v5, vcc_lo
	v_add_co_u32 v11, vcc_lo, v11, s10
	v_add_co_ci_u32_e32 v12, vcc_lo, s11, v12, vcc_lo
	s_delay_alu instid0(VALU_DEP_3) | instskip(SKIP_1) | instid1(VALU_DEP_1)
	v_cmp_le_i64_e32 vcc_lo, s[8:9], v[4:5]
	v_add_co_u32 v2, s2, 0x800, v2
	v_add_co_ci_u32_e64 v3, s2, 0, v3, s2
	s_or_b32 s17, vcc_lo, s17
	s_delay_alu instid0(SALU_CYCLE_1)
	s_and_not1_b32 exec_lo, exec_lo, s17
	s_cbranch_execz .LBB8_8
.LBB8_5:                                ; =>This Inner Loop Header: Depth=1
	global_load_b32 v6, v[2:3], off
	s_mov_b32 s2, exec_lo
	s_waitcnt vmcnt(0)
	v_ashrrev_i32_e32 v7, 31, v6
	s_delay_alu instid0(VALU_DEP_1)
	v_cmpx_ne_u64_e64 s[14:15], v[6:7]
	s_cbranch_execz .LBB8_4
; %bb.6:                                ;   in Loop: Header=BB8_5 Depth=1
	v_lshlrev_b64 v[6:7], 1, v[6:7]
	s_and_not1_b32 vcc_lo, exec_lo, s16
	s_cbranch_vccz .LBB8_2
; %bb.7:                                ;   in Loop: Header=BB8_5 Depth=1
	v_mov_b32_e32 v13, 0x3c00
	s_branch .LBB8_3
.LBB8_8:
	s_set_inst_prefetch_distance 0x2
	s_or_b32 exec_lo, exec_lo, s3
; %bb.9:
	s_waitcnt lgkmcnt(0)
	s_barrier
	buffer_gl0_inv
	s_mov_b32 s2, exec_lo
	v_cmpx_eq_u32_e32 0, v0
	s_cbranch_execz .LBB8_13
; %bb.10:
	v_dual_mov_b32 v0, 0 :: v_dual_mov_b32 v1, 0
	s_mov_b32 s2, 0
.LBB8_11:                               ; =>This Inner Loop Header: Depth=1
	s_delay_alu instid0(SALU_CYCLE_1)
	v_mov_b32_e32 v14, s2
	s_add_i32 s2, s2, 32
	ds_load_b128 v[2:5], v14 offset:1024
	ds_load_b128 v[6:9], v14
	ds_load_b128 v[10:13], v14 offset:16
	ds_load_b128 v[14:17], v14 offset:1040
	s_cmpk_eq_i32 s2, 0x400
	s_waitcnt lgkmcnt(3)
	v_lshrrev_b32_e32 v18, 16, v2
	v_add_f16_e32 v1, v1, v2
	s_waitcnt lgkmcnt(2)
	v_lshrrev_b32_e32 v2, 16, v6
	v_add_f16_e32 v0, v0, v6
	v_lshrrev_b32_e32 v6, 16, v7
	v_add_f16_e32 v1, v1, v18
	s_delay_alu instid0(VALU_DEP_3) | instskip(SKIP_1) | instid1(VALU_DEP_3)
	v_add_f16_e32 v0, v0, v2
	v_lshrrev_b32_e32 v2, 16, v3
	v_add_f16_e32 v1, v1, v3
	v_lshrrev_b32_e32 v3, 16, v8
	s_delay_alu instid0(VALU_DEP_4) | instskip(NEXT) | instid1(VALU_DEP_3)
	v_add_f16_e32 v0, v0, v7
	v_add_f16_e32 v1, v1, v2
	v_lshrrev_b32_e32 v2, 16, v4
	s_delay_alu instid0(VALU_DEP_3) | instskip(NEXT) | instid1(VALU_DEP_3)
	v_add_f16_e32 v0, v0, v6
	v_add_f16_e32 v1, v1, v4
	s_delay_alu instid0(VALU_DEP_2) | instskip(NEXT) | instid1(VALU_DEP_2)
	v_add_f16_e32 v0, v0, v8
	v_add_f16_e32 v1, v1, v2
	v_lshrrev_b32_e32 v2, 16, v5
	s_delay_alu instid0(VALU_DEP_3) | instskip(SKIP_1) | instid1(VALU_DEP_4)
	v_add_f16_e32 v0, v0, v3
	v_lshrrev_b32_e32 v3, 16, v9
	v_add_f16_e32 v1, v1, v5
	s_delay_alu instid0(VALU_DEP_3) | instskip(NEXT) | instid1(VALU_DEP_2)
	v_add_f16_e32 v0, v0, v9
	v_add_f16_e32 v1, v1, v2
	s_waitcnt lgkmcnt(0)
	v_lshrrev_b32_e32 v2, 16, v14
	s_delay_alu instid0(VALU_DEP_3) | instskip(SKIP_2) | instid1(VALU_DEP_3)
	v_add_f16_e32 v0, v0, v3
	v_lshrrev_b32_e32 v3, 16, v10
	v_add_f16_e32 v1, v1, v14
	v_add_f16_e32 v0, v0, v10
	s_delay_alu instid0(VALU_DEP_2) | instskip(SKIP_1) | instid1(VALU_DEP_3)
	v_add_f16_e32 v1, v1, v2
	v_lshrrev_b32_e32 v2, 16, v15
	v_add_f16_e32 v0, v0, v3
	v_lshrrev_b32_e32 v3, 16, v11
	s_delay_alu instid0(VALU_DEP_4) | instskip(NEXT) | instid1(VALU_DEP_3)
	v_add_f16_e32 v1, v1, v15
	v_add_f16_e32 v0, v0, v11
	s_delay_alu instid0(VALU_DEP_2) | instskip(SKIP_1) | instid1(VALU_DEP_3)
	v_add_f16_e32 v1, v1, v2
	v_lshrrev_b32_e32 v2, 16, v16
	v_add_f16_e32 v0, v0, v3
	v_lshrrev_b32_e32 v3, 16, v12
	s_delay_alu instid0(VALU_DEP_4) | instskip(NEXT) | instid1(VALU_DEP_3)
	;; [unrolled: 8-line block ×3, first 2 shown]
	v_add_f16_e32 v1, v1, v17
	v_add_f16_e32 v0, v0, v13
	s_delay_alu instid0(VALU_DEP_2) | instskip(NEXT) | instid1(VALU_DEP_2)
	v_add_f16_e32 v1, v1, v2
	v_add_f16_e32 v0, v0, v3
	s_cbranch_scc0 .LBB8_11
; %bb.12:
	s_delay_alu instid0(VALU_DEP_1) | instskip(NEXT) | instid1(VALU_DEP_3)
	v_cvt_f32_f16_e32 v2, v0
	v_cvt_f32_f16_e32 v3, v1
	s_load_b32 s0, s[0:1], 0x28
	s_delay_alu instid0(VALU_DEP_2) | instskip(SKIP_2) | instid1(VALU_DEP_1)
	v_rcp_f32_e32 v2, v2
	s_waitcnt_depctr 0xfff
	v_mul_f32_e32 v3, v3, v2
	v_fma_mix_f32 v4, -v0, v3, v1 op_sel_hi:[1,0,1]
	s_waitcnt lgkmcnt(0)
	s_bitcmp1_b32 s0, 0
	s_cselect_b32 vcc_lo, -1, 0
	s_delay_alu instid0(VALU_DEP_1) | instskip(NEXT) | instid1(VALU_DEP_1)
	v_fmac_f32_e32 v3, v4, v2
	v_fma_mix_f32 v4, -v0, v3, v1 op_sel_hi:[1,0,1]
	s_delay_alu instid0(VALU_DEP_1) | instskip(NEXT) | instid1(VALU_DEP_1)
	v_mul_f32_e32 v2, v4, v2
	v_and_b32_e32 v2, 0xff800000, v2
	s_delay_alu instid0(VALU_DEP_1) | instskip(NEXT) | instid1(VALU_DEP_1)
	v_dual_add_f32 v2, v2, v3 :: v_dual_mov_b32 v3, 0
	v_cvt_f16_f32_e32 v2, v2
	s_delay_alu instid0(VALU_DEP_1) | instskip(NEXT) | instid1(VALU_DEP_1)
	v_div_fixup_f16 v2, v2, v0, v1
	v_cndmask_b32_e32 v1, v1, v2, vcc_lo
	s_clause 0x1
	global_store_b16 v3, v0, s[6:7]
	global_store_b16 v3, v1, s[4:5]
.LBB8_13:
	s_nop 0
	s_sendmsg sendmsg(MSG_DEALLOC_VGPRS)
	s_endpgm
	.section	.rodata,"a",@progbits
	.p2align	6, 0x0
	.amdhsa_kernel _Z32nll_loss_forward_reduce2d_kernelI6__halfS0_iLi512EEvPT_S2_PKS1_PKT1_S4_blll
		.amdhsa_group_segment_fixed_size 2048
		.amdhsa_private_segment_fixed_size 0
		.amdhsa_kernarg_size 72
		.amdhsa_user_sgpr_count 15
		.amdhsa_user_sgpr_dispatch_ptr 0
		.amdhsa_user_sgpr_queue_ptr 0
		.amdhsa_user_sgpr_kernarg_segment_ptr 1
		.amdhsa_user_sgpr_dispatch_id 0
		.amdhsa_user_sgpr_private_segment_size 0
		.amdhsa_wavefront_size32 1
		.amdhsa_uses_dynamic_stack 0
		.amdhsa_enable_private_segment 0
		.amdhsa_system_sgpr_workgroup_id_x 1
		.amdhsa_system_sgpr_workgroup_id_y 0
		.amdhsa_system_sgpr_workgroup_id_z 0
		.amdhsa_system_sgpr_workgroup_info 0
		.amdhsa_system_vgpr_workitem_id 0
		.amdhsa_next_free_vgpr 19
		.amdhsa_next_free_sgpr 24
		.amdhsa_reserve_vcc 1
		.amdhsa_float_round_mode_32 0
		.amdhsa_float_round_mode_16_64 0
		.amdhsa_float_denorm_mode_32 3
		.amdhsa_float_denorm_mode_16_64 3
		.amdhsa_dx10_clamp 1
		.amdhsa_ieee_mode 1
		.amdhsa_fp16_overflow 0
		.amdhsa_workgroup_processor_mode 1
		.amdhsa_memory_ordered 1
		.amdhsa_forward_progress 0
		.amdhsa_shared_vgpr_count 0
		.amdhsa_exception_fp_ieee_invalid_op 0
		.amdhsa_exception_fp_denorm_src 0
		.amdhsa_exception_fp_ieee_div_zero 0
		.amdhsa_exception_fp_ieee_overflow 0
		.amdhsa_exception_fp_ieee_underflow 0
		.amdhsa_exception_fp_ieee_inexact 0
		.amdhsa_exception_int_div_zero 0
	.end_amdhsa_kernel
	.section	.text._Z32nll_loss_forward_reduce2d_kernelI6__halfS0_iLi512EEvPT_S2_PKS1_PKT1_S4_blll,"axG",@progbits,_Z32nll_loss_forward_reduce2d_kernelI6__halfS0_iLi512EEvPT_S2_PKS1_PKT1_S4_blll,comdat
.Lfunc_end8:
	.size	_Z32nll_loss_forward_reduce2d_kernelI6__halfS0_iLi512EEvPT_S2_PKS1_PKT1_S4_blll, .Lfunc_end8-_Z32nll_loss_forward_reduce2d_kernelI6__halfS0_iLi512EEvPT_S2_PKS1_PKT1_S4_blll
                                        ; -- End function
	.section	.AMDGPU.csdata,"",@progbits
; Kernel info:
; codeLenInByte = 948
; NumSgprs: 26
; NumVgprs: 19
; ScratchSize: 0
; MemoryBound: 0
; FloatMode: 240
; IeeeMode: 1
; LDSByteSize: 2048 bytes/workgroup (compile time only)
; SGPRBlocks: 3
; VGPRBlocks: 2
; NumSGPRsForWavesPerEU: 26
; NumVGPRsForWavesPerEU: 19
; Occupancy: 16
; WaveLimiterHint : 1
; COMPUTE_PGM_RSRC2:SCRATCH_EN: 0
; COMPUTE_PGM_RSRC2:USER_SGPR: 15
; COMPUTE_PGM_RSRC2:TRAP_HANDLER: 0
; COMPUTE_PGM_RSRC2:TGID_X_EN: 1
; COMPUTE_PGM_RSRC2:TGID_Y_EN: 0
; COMPUTE_PGM_RSRC2:TGID_Z_EN: 0
; COMPUTE_PGM_RSRC2:TIDIG_COMP_CNT: 0
	.section	.text._Z32nll_loss_forward_reduce2d_kernelI6__halfS0_iLi1024EEvPT_S2_PKS1_PKT1_S4_blll,"axG",@progbits,_Z32nll_loss_forward_reduce2d_kernelI6__halfS0_iLi1024EEvPT_S2_PKS1_PKT1_S4_blll,comdat
	.protected	_Z32nll_loss_forward_reduce2d_kernelI6__halfS0_iLi1024EEvPT_S2_PKS1_PKT1_S4_blll ; -- Begin function _Z32nll_loss_forward_reduce2d_kernelI6__halfS0_iLi1024EEvPT_S2_PKS1_PKT1_S4_blll
	.globl	_Z32nll_loss_forward_reduce2d_kernelI6__halfS0_iLi1024EEvPT_S2_PKS1_PKT1_S4_blll
	.p2align	8
	.type	_Z32nll_loss_forward_reduce2d_kernelI6__halfS0_iLi1024EEvPT_S2_PKS1_PKT1_S4_blll,@function
_Z32nll_loss_forward_reduce2d_kernelI6__halfS0_iLi1024EEvPT_S2_PKS1_PKT1_S4_blll: ; @_Z32nll_loss_forward_reduce2d_kernelI6__halfS0_iLi1024EEvPT_S2_PKS1_PKT1_S4_blll
; %bb.0:
	s_clause 0x1
	s_load_b128 s[8:11], s[0:1], 0x30
	s_load_b128 s[4:7], s[0:1], 0x0
	v_dual_mov_b32 v1, 0 :: v_dual_lshlrev_b32 v8, 1, v0
	s_mov_b32 s3, exec_lo
	ds_store_b16 v8, v1 offset:2048
	ds_store_b16 v8, v1
	s_waitcnt lgkmcnt(0)
	v_cmpx_gt_i64_e64 s[8:9], v[0:1]
	s_cbranch_execz .LBB9_8
; %bb.1:
	v_mad_u64_u32 v[2:3], null, s10, v0, 0
	s_clause 0x2
	s_load_b64 s[12:13], s[0:1], 0x20
	s_load_b128 s[20:23], s[0:1], 0x10
	s_load_b64 s[14:15], s[0:1], 0x40
	v_or_b32_e32 v9, 0x800, v8
	v_mov_b32_e32 v10, v1
	s_mov_b32 s17, 0
	v_lshlrev_b32_e32 v6, 2, v0
	v_mad_u64_u32 v[4:5], null, s11, v0, v[3:4]
	s_delay_alu instid0(VALU_DEP_1) | instskip(SKIP_2) | instid1(VALU_DEP_1)
	v_mov_b32_e32 v3, v4
	s_waitcnt lgkmcnt(0)
	s_cmp_lg_u64 s[12:13], 0
	v_lshlrev_b64 v[4:5], 1, v[2:3]
	v_add_co_u32 v2, s2, s22, v6
	s_delay_alu instid0(VALU_DEP_1) | instskip(SKIP_1) | instid1(VALU_DEP_3)
	v_add_co_ci_u32_e64 v3, null, s23, 0, s2
	s_cselect_b32 s16, -1, 0
	v_add_co_u32 v11, vcc_lo, s20, v4
	s_delay_alu instid0(VALU_DEP_4)
	v_add_co_ci_u32_e32 v12, vcc_lo, s21, v5, vcc_lo
	v_dual_mov_b32 v5, v1 :: v_dual_mov_b32 v4, v0
	s_lshl_b64 s[10:11], s[10:11], 11
	s_set_inst_prefetch_distance 0x1
	s_branch .LBB9_5
	.p2align	6
.LBB9_2:                                ;   in Loop: Header=BB9_5 Depth=1
	s_delay_alu instid0(VALU_DEP_1) | instskip(NEXT) | instid1(VALU_DEP_2)
	v_add_co_u32 v13, vcc_lo, s12, v6
	v_add_co_ci_u32_e32 v14, vcc_lo, s13, v7, vcc_lo
	global_load_u16 v13, v[13:14], off
.LBB9_3:                                ;   in Loop: Header=BB9_5 Depth=1
	s_delay_alu instid0(VALU_DEP_2)
	v_add_co_u32 v6, vcc_lo, v11, v6
	v_add_co_ci_u32_e32 v7, vcc_lo, v12, v7, vcc_lo
	s_waitcnt vmcnt(0)
	v_add_f16_e32 v1, v13, v1
	global_load_u16 v6, v[6:7], off
	s_waitcnt vmcnt(0)
	v_fma_f16 v10, -v13, v6, v10
	ds_store_b16 v9, v10
	ds_store_b16 v8, v1
.LBB9_4:                                ;   in Loop: Header=BB9_5 Depth=1
	s_or_b32 exec_lo, exec_lo, s2
	v_add_co_u32 v4, vcc_lo, 0x400, v4
	v_add_co_ci_u32_e32 v5, vcc_lo, 0, v5, vcc_lo
	v_add_co_u32 v11, vcc_lo, v11, s10
	v_add_co_ci_u32_e32 v12, vcc_lo, s11, v12, vcc_lo
	s_delay_alu instid0(VALU_DEP_3) | instskip(SKIP_1) | instid1(VALU_DEP_1)
	v_cmp_le_i64_e32 vcc_lo, s[8:9], v[4:5]
	v_add_co_u32 v2, s2, 0x1000, v2
	v_add_co_ci_u32_e64 v3, s2, 0, v3, s2
	s_or_b32 s17, vcc_lo, s17
	s_delay_alu instid0(SALU_CYCLE_1)
	s_and_not1_b32 exec_lo, exec_lo, s17
	s_cbranch_execz .LBB9_8
.LBB9_5:                                ; =>This Inner Loop Header: Depth=1
	global_load_b32 v6, v[2:3], off
	s_mov_b32 s2, exec_lo
	s_waitcnt vmcnt(0)
	v_ashrrev_i32_e32 v7, 31, v6
	s_delay_alu instid0(VALU_DEP_1)
	v_cmpx_ne_u64_e64 s[14:15], v[6:7]
	s_cbranch_execz .LBB9_4
; %bb.6:                                ;   in Loop: Header=BB9_5 Depth=1
	v_lshlrev_b64 v[6:7], 1, v[6:7]
	s_and_not1_b32 vcc_lo, exec_lo, s16
	s_cbranch_vccz .LBB9_2
; %bb.7:                                ;   in Loop: Header=BB9_5 Depth=1
	v_mov_b32_e32 v13, 0x3c00
	s_branch .LBB9_3
.LBB9_8:
	s_set_inst_prefetch_distance 0x2
	s_or_b32 exec_lo, exec_lo, s3
; %bb.9:
	s_waitcnt lgkmcnt(0)
	s_barrier
	buffer_gl0_inv
	s_mov_b32 s2, exec_lo
	v_cmpx_eq_u32_e32 0, v0
	s_cbranch_execz .LBB9_13
; %bb.10:
	v_dual_mov_b32 v0, 0 :: v_dual_mov_b32 v1, 0
	s_mov_b32 s2, 0
.LBB9_11:                               ; =>This Inner Loop Header: Depth=1
	s_delay_alu instid0(SALU_CYCLE_1)
	v_mov_b32_e32 v14, s2
	s_add_i32 s2, s2, 32
	ds_load_b128 v[2:5], v14 offset:2048
	ds_load_b128 v[6:9], v14
	ds_load_b128 v[10:13], v14 offset:16
	ds_load_b128 v[14:17], v14 offset:2064
	s_cmpk_eq_i32 s2, 0x800
	s_waitcnt lgkmcnt(3)
	v_lshrrev_b32_e32 v18, 16, v2
	v_add_f16_e32 v1, v1, v2
	s_waitcnt lgkmcnt(2)
	v_lshrrev_b32_e32 v2, 16, v6
	v_add_f16_e32 v0, v0, v6
	v_lshrrev_b32_e32 v6, 16, v7
	v_add_f16_e32 v1, v1, v18
	s_delay_alu instid0(VALU_DEP_3) | instskip(SKIP_1) | instid1(VALU_DEP_3)
	v_add_f16_e32 v0, v0, v2
	v_lshrrev_b32_e32 v2, 16, v3
	v_add_f16_e32 v1, v1, v3
	v_lshrrev_b32_e32 v3, 16, v8
	s_delay_alu instid0(VALU_DEP_4) | instskip(NEXT) | instid1(VALU_DEP_3)
	v_add_f16_e32 v0, v0, v7
	v_add_f16_e32 v1, v1, v2
	v_lshrrev_b32_e32 v2, 16, v4
	s_delay_alu instid0(VALU_DEP_3) | instskip(NEXT) | instid1(VALU_DEP_3)
	v_add_f16_e32 v0, v0, v6
	v_add_f16_e32 v1, v1, v4
	s_delay_alu instid0(VALU_DEP_2) | instskip(NEXT) | instid1(VALU_DEP_2)
	v_add_f16_e32 v0, v0, v8
	v_add_f16_e32 v1, v1, v2
	v_lshrrev_b32_e32 v2, 16, v5
	s_delay_alu instid0(VALU_DEP_3) | instskip(SKIP_1) | instid1(VALU_DEP_4)
	v_add_f16_e32 v0, v0, v3
	v_lshrrev_b32_e32 v3, 16, v9
	v_add_f16_e32 v1, v1, v5
	s_delay_alu instid0(VALU_DEP_3) | instskip(NEXT) | instid1(VALU_DEP_2)
	v_add_f16_e32 v0, v0, v9
	v_add_f16_e32 v1, v1, v2
	s_waitcnt lgkmcnt(0)
	v_lshrrev_b32_e32 v2, 16, v14
	s_delay_alu instid0(VALU_DEP_3) | instskip(SKIP_2) | instid1(VALU_DEP_3)
	v_add_f16_e32 v0, v0, v3
	v_lshrrev_b32_e32 v3, 16, v10
	v_add_f16_e32 v1, v1, v14
	v_add_f16_e32 v0, v0, v10
	s_delay_alu instid0(VALU_DEP_2) | instskip(SKIP_1) | instid1(VALU_DEP_3)
	v_add_f16_e32 v1, v1, v2
	v_lshrrev_b32_e32 v2, 16, v15
	v_add_f16_e32 v0, v0, v3
	v_lshrrev_b32_e32 v3, 16, v11
	s_delay_alu instid0(VALU_DEP_4) | instskip(NEXT) | instid1(VALU_DEP_3)
	v_add_f16_e32 v1, v1, v15
	v_add_f16_e32 v0, v0, v11
	s_delay_alu instid0(VALU_DEP_2) | instskip(SKIP_1) | instid1(VALU_DEP_3)
	v_add_f16_e32 v1, v1, v2
	v_lshrrev_b32_e32 v2, 16, v16
	v_add_f16_e32 v0, v0, v3
	v_lshrrev_b32_e32 v3, 16, v12
	s_delay_alu instid0(VALU_DEP_4) | instskip(NEXT) | instid1(VALU_DEP_3)
	;; [unrolled: 8-line block ×3, first 2 shown]
	v_add_f16_e32 v1, v1, v17
	v_add_f16_e32 v0, v0, v13
	s_delay_alu instid0(VALU_DEP_2) | instskip(NEXT) | instid1(VALU_DEP_2)
	v_add_f16_e32 v1, v1, v2
	v_add_f16_e32 v0, v0, v3
	s_cbranch_scc0 .LBB9_11
; %bb.12:
	s_delay_alu instid0(VALU_DEP_1) | instskip(NEXT) | instid1(VALU_DEP_3)
	v_cvt_f32_f16_e32 v2, v0
	v_cvt_f32_f16_e32 v3, v1
	s_load_b32 s0, s[0:1], 0x28
	s_delay_alu instid0(VALU_DEP_2) | instskip(SKIP_2) | instid1(VALU_DEP_1)
	v_rcp_f32_e32 v2, v2
	s_waitcnt_depctr 0xfff
	v_mul_f32_e32 v3, v3, v2
	v_fma_mix_f32 v4, -v0, v3, v1 op_sel_hi:[1,0,1]
	s_waitcnt lgkmcnt(0)
	s_bitcmp1_b32 s0, 0
	s_cselect_b32 vcc_lo, -1, 0
	s_delay_alu instid0(VALU_DEP_1) | instskip(NEXT) | instid1(VALU_DEP_1)
	v_fmac_f32_e32 v3, v4, v2
	v_fma_mix_f32 v4, -v0, v3, v1 op_sel_hi:[1,0,1]
	s_delay_alu instid0(VALU_DEP_1) | instskip(NEXT) | instid1(VALU_DEP_1)
	v_mul_f32_e32 v2, v4, v2
	v_and_b32_e32 v2, 0xff800000, v2
	s_delay_alu instid0(VALU_DEP_1) | instskip(NEXT) | instid1(VALU_DEP_1)
	v_dual_add_f32 v2, v2, v3 :: v_dual_mov_b32 v3, 0
	v_cvt_f16_f32_e32 v2, v2
	s_delay_alu instid0(VALU_DEP_1) | instskip(NEXT) | instid1(VALU_DEP_1)
	v_div_fixup_f16 v2, v2, v0, v1
	v_cndmask_b32_e32 v1, v1, v2, vcc_lo
	s_clause 0x1
	global_store_b16 v3, v0, s[6:7]
	global_store_b16 v3, v1, s[4:5]
.LBB9_13:
	s_nop 0
	s_sendmsg sendmsg(MSG_DEALLOC_VGPRS)
	s_endpgm
	.section	.rodata,"a",@progbits
	.p2align	6, 0x0
	.amdhsa_kernel _Z32nll_loss_forward_reduce2d_kernelI6__halfS0_iLi1024EEvPT_S2_PKS1_PKT1_S4_blll
		.amdhsa_group_segment_fixed_size 4096
		.amdhsa_private_segment_fixed_size 0
		.amdhsa_kernarg_size 72
		.amdhsa_user_sgpr_count 15
		.amdhsa_user_sgpr_dispatch_ptr 0
		.amdhsa_user_sgpr_queue_ptr 0
		.amdhsa_user_sgpr_kernarg_segment_ptr 1
		.amdhsa_user_sgpr_dispatch_id 0
		.amdhsa_user_sgpr_private_segment_size 0
		.amdhsa_wavefront_size32 1
		.amdhsa_uses_dynamic_stack 0
		.amdhsa_enable_private_segment 0
		.amdhsa_system_sgpr_workgroup_id_x 1
		.amdhsa_system_sgpr_workgroup_id_y 0
		.amdhsa_system_sgpr_workgroup_id_z 0
		.amdhsa_system_sgpr_workgroup_info 0
		.amdhsa_system_vgpr_workitem_id 0
		.amdhsa_next_free_vgpr 19
		.amdhsa_next_free_sgpr 24
		.amdhsa_reserve_vcc 1
		.amdhsa_float_round_mode_32 0
		.amdhsa_float_round_mode_16_64 0
		.amdhsa_float_denorm_mode_32 3
		.amdhsa_float_denorm_mode_16_64 3
		.amdhsa_dx10_clamp 1
		.amdhsa_ieee_mode 1
		.amdhsa_fp16_overflow 0
		.amdhsa_workgroup_processor_mode 1
		.amdhsa_memory_ordered 1
		.amdhsa_forward_progress 0
		.amdhsa_shared_vgpr_count 0
		.amdhsa_exception_fp_ieee_invalid_op 0
		.amdhsa_exception_fp_denorm_src 0
		.amdhsa_exception_fp_ieee_div_zero 0
		.amdhsa_exception_fp_ieee_overflow 0
		.amdhsa_exception_fp_ieee_underflow 0
		.amdhsa_exception_fp_ieee_inexact 0
		.amdhsa_exception_int_div_zero 0
	.end_amdhsa_kernel
	.section	.text._Z32nll_loss_forward_reduce2d_kernelI6__halfS0_iLi1024EEvPT_S2_PKS1_PKT1_S4_blll,"axG",@progbits,_Z32nll_loss_forward_reduce2d_kernelI6__halfS0_iLi1024EEvPT_S2_PKS1_PKT1_S4_blll,comdat
.Lfunc_end9:
	.size	_Z32nll_loss_forward_reduce2d_kernelI6__halfS0_iLi1024EEvPT_S2_PKS1_PKT1_S4_blll, .Lfunc_end9-_Z32nll_loss_forward_reduce2d_kernelI6__halfS0_iLi1024EEvPT_S2_PKS1_PKT1_S4_blll
                                        ; -- End function
	.section	.AMDGPU.csdata,"",@progbits
; Kernel info:
; codeLenInByte = 948
; NumSgprs: 26
; NumVgprs: 19
; ScratchSize: 0
; MemoryBound: 0
; FloatMode: 240
; IeeeMode: 1
; LDSByteSize: 4096 bytes/workgroup (compile time only)
; SGPRBlocks: 3
; VGPRBlocks: 2
; NumSGPRsForWavesPerEU: 26
; NumVGPRsForWavesPerEU: 19
; Occupancy: 16
; WaveLimiterHint : 1
; COMPUTE_PGM_RSRC2:SCRATCH_EN: 0
; COMPUTE_PGM_RSRC2:USER_SGPR: 15
; COMPUTE_PGM_RSRC2:TRAP_HANDLER: 0
; COMPUTE_PGM_RSRC2:TGID_X_EN: 1
; COMPUTE_PGM_RSRC2:TGID_Y_EN: 0
; COMPUTE_PGM_RSRC2:TGID_Z_EN: 0
; COMPUTE_PGM_RSRC2:TIDIG_COMP_CNT: 0
	.text
	.p2alignl 7, 3214868480
	.fill 96, 4, 3214868480
	.type	__hip_cuid_2ac8cebc2a0abf99,@object ; @__hip_cuid_2ac8cebc2a0abf99
	.section	.bss,"aw",@nobits
	.globl	__hip_cuid_2ac8cebc2a0abf99
__hip_cuid_2ac8cebc2a0abf99:
	.byte	0                               ; 0x0
	.size	__hip_cuid_2ac8cebc2a0abf99, 1

	.ident	"AMD clang version 19.0.0git (https://github.com/RadeonOpenCompute/llvm-project roc-6.4.0 25133 c7fe45cf4b819c5991fe208aaa96edf142730f1d)"
	.section	".note.GNU-stack","",@progbits
	.addrsig
	.addrsig_sym __hip_cuid_2ac8cebc2a0abf99
	.amdgpu_metadata
---
amdhsa.kernels:
  - .args:
      - .actual_access:  write_only
        .address_space:  global
        .offset:         0
        .size:           8
        .value_kind:     global_buffer
      - .actual_access:  write_only
        .address_space:  global
        .offset:         8
        .size:           8
        .value_kind:     global_buffer
      - .actual_access:  read_only
        .address_space:  global
        .offset:         16
        .size:           8
        .value_kind:     global_buffer
      - .actual_access:  read_only
        .address_space:  global
        .offset:         24
        .size:           8
        .value_kind:     global_buffer
      - .actual_access:  read_only
        .address_space:  global
        .offset:         32
        .size:           8
        .value_kind:     global_buffer
      - .offset:         40
        .size:           1
        .value_kind:     by_value
      - .offset:         48
        .size:           8
        .value_kind:     by_value
      - .offset:         56
        .size:           8
        .value_kind:     by_value
      - .offset:         64
        .size:           8
        .value_kind:     by_value
    .group_segment_fixed_size: 512
    .kernarg_segment_align: 8
    .kernarg_segment_size: 72
    .language:       OpenCL C
    .language_version:
      - 2
      - 0
    .max_flat_workgroup_size: 1024
    .name:           _Z32nll_loss_forward_reduce2d_kernelIffiLi64EEvPT_S1_PKS0_PKT1_S3_blll
    .private_segment_fixed_size: 0
    .sgpr_count:     26
    .sgpr_spill_count: 0
    .symbol:         _Z32nll_loss_forward_reduce2d_kernelIffiLi64EEvPT_S1_PKS0_PKT1_S3_blll.kd
    .uniform_work_group_size: 1
    .uses_dynamic_stack: false
    .vgpr_count:     19
    .vgpr_spill_count: 0
    .wavefront_size: 32
    .workgroup_processor_mode: 1
  - .args:
      - .actual_access:  write_only
        .address_space:  global
        .offset:         0
        .size:           8
        .value_kind:     global_buffer
      - .actual_access:  write_only
        .address_space:  global
        .offset:         8
        .size:           8
        .value_kind:     global_buffer
      - .actual_access:  read_only
        .address_space:  global
        .offset:         16
        .size:           8
        .value_kind:     global_buffer
      - .actual_access:  read_only
        .address_space:  global
        .offset:         24
        .size:           8
        .value_kind:     global_buffer
      - .actual_access:  read_only
        .address_space:  global
        .offset:         32
        .size:           8
        .value_kind:     global_buffer
      - .offset:         40
        .size:           1
        .value_kind:     by_value
      - .offset:         48
        .size:           8
        .value_kind:     by_value
      - .offset:         56
        .size:           8
        .value_kind:     by_value
      - .offset:         64
        .size:           8
        .value_kind:     by_value
    .group_segment_fixed_size: 1024
    .kernarg_segment_align: 8
    .kernarg_segment_size: 72
    .language:       OpenCL C
    .language_version:
      - 2
      - 0
    .max_flat_workgroup_size: 1024
    .name:           _Z32nll_loss_forward_reduce2d_kernelIffiLi128EEvPT_S1_PKS0_PKT1_S3_blll
    .private_segment_fixed_size: 0
    .sgpr_count:     26
    .sgpr_spill_count: 0
    .symbol:         _Z32nll_loss_forward_reduce2d_kernelIffiLi128EEvPT_S1_PKS0_PKT1_S3_blll.kd
    .uniform_work_group_size: 1
    .uses_dynamic_stack: false
    .vgpr_count:     19
    .vgpr_spill_count: 0
    .wavefront_size: 32
    .workgroup_processor_mode: 1
  - .args:
      - .actual_access:  write_only
        .address_space:  global
        .offset:         0
        .size:           8
        .value_kind:     global_buffer
      - .actual_access:  write_only
        .address_space:  global
        .offset:         8
        .size:           8
        .value_kind:     global_buffer
      - .actual_access:  read_only
        .address_space:  global
        .offset:         16
        .size:           8
        .value_kind:     global_buffer
      - .actual_access:  read_only
        .address_space:  global
        .offset:         24
        .size:           8
        .value_kind:     global_buffer
      - .actual_access:  read_only
        .address_space:  global
        .offset:         32
        .size:           8
        .value_kind:     global_buffer
      - .offset:         40
        .size:           1
        .value_kind:     by_value
      - .offset:         48
        .size:           8
        .value_kind:     by_value
      - .offset:         56
        .size:           8
        .value_kind:     by_value
      - .offset:         64
        .size:           8
        .value_kind:     by_value
    .group_segment_fixed_size: 2048
    .kernarg_segment_align: 8
    .kernarg_segment_size: 72
    .language:       OpenCL C
    .language_version:
      - 2
      - 0
    .max_flat_workgroup_size: 1024
    .name:           _Z32nll_loss_forward_reduce2d_kernelIffiLi256EEvPT_S1_PKS0_PKT1_S3_blll
    .private_segment_fixed_size: 0
    .sgpr_count:     26
    .sgpr_spill_count: 0
    .symbol:         _Z32nll_loss_forward_reduce2d_kernelIffiLi256EEvPT_S1_PKS0_PKT1_S3_blll.kd
    .uniform_work_group_size: 1
    .uses_dynamic_stack: false
    .vgpr_count:     19
    .vgpr_spill_count: 0
    .wavefront_size: 32
    .workgroup_processor_mode: 1
  - .args:
      - .actual_access:  write_only
        .address_space:  global
        .offset:         0
        .size:           8
        .value_kind:     global_buffer
      - .actual_access:  write_only
        .address_space:  global
        .offset:         8
        .size:           8
        .value_kind:     global_buffer
      - .actual_access:  read_only
        .address_space:  global
        .offset:         16
        .size:           8
        .value_kind:     global_buffer
      - .actual_access:  read_only
        .address_space:  global
        .offset:         24
        .size:           8
        .value_kind:     global_buffer
      - .actual_access:  read_only
        .address_space:  global
        .offset:         32
        .size:           8
        .value_kind:     global_buffer
      - .offset:         40
        .size:           1
        .value_kind:     by_value
      - .offset:         48
        .size:           8
        .value_kind:     by_value
      - .offset:         56
        .size:           8
        .value_kind:     by_value
      - .offset:         64
        .size:           8
        .value_kind:     by_value
    .group_segment_fixed_size: 4096
    .kernarg_segment_align: 8
    .kernarg_segment_size: 72
    .language:       OpenCL C
    .language_version:
      - 2
      - 0
    .max_flat_workgroup_size: 1024
    .name:           _Z32nll_loss_forward_reduce2d_kernelIffiLi512EEvPT_S1_PKS0_PKT1_S3_blll
    .private_segment_fixed_size: 0
    .sgpr_count:     26
    .sgpr_spill_count: 0
    .symbol:         _Z32nll_loss_forward_reduce2d_kernelIffiLi512EEvPT_S1_PKS0_PKT1_S3_blll.kd
    .uniform_work_group_size: 1
    .uses_dynamic_stack: false
    .vgpr_count:     19
    .vgpr_spill_count: 0
    .wavefront_size: 32
    .workgroup_processor_mode: 1
  - .args:
      - .actual_access:  write_only
        .address_space:  global
        .offset:         0
        .size:           8
        .value_kind:     global_buffer
      - .actual_access:  write_only
        .address_space:  global
        .offset:         8
        .size:           8
        .value_kind:     global_buffer
      - .actual_access:  read_only
        .address_space:  global
        .offset:         16
        .size:           8
        .value_kind:     global_buffer
      - .actual_access:  read_only
        .address_space:  global
        .offset:         24
        .size:           8
        .value_kind:     global_buffer
      - .actual_access:  read_only
        .address_space:  global
        .offset:         32
        .size:           8
        .value_kind:     global_buffer
      - .offset:         40
        .size:           1
        .value_kind:     by_value
      - .offset:         48
        .size:           8
        .value_kind:     by_value
      - .offset:         56
        .size:           8
        .value_kind:     by_value
      - .offset:         64
        .size:           8
        .value_kind:     by_value
    .group_segment_fixed_size: 8192
    .kernarg_segment_align: 8
    .kernarg_segment_size: 72
    .language:       OpenCL C
    .language_version:
      - 2
      - 0
    .max_flat_workgroup_size: 1024
    .name:           _Z32nll_loss_forward_reduce2d_kernelIffiLi1024EEvPT_S1_PKS0_PKT1_S3_blll
    .private_segment_fixed_size: 0
    .sgpr_count:     26
    .sgpr_spill_count: 0
    .symbol:         _Z32nll_loss_forward_reduce2d_kernelIffiLi1024EEvPT_S1_PKS0_PKT1_S3_blll.kd
    .uniform_work_group_size: 1
    .uses_dynamic_stack: false
    .vgpr_count:     19
    .vgpr_spill_count: 0
    .wavefront_size: 32
    .workgroup_processor_mode: 1
  - .args:
      - .actual_access:  write_only
        .address_space:  global
        .offset:         0
        .size:           8
        .value_kind:     global_buffer
      - .actual_access:  write_only
        .address_space:  global
        .offset:         8
        .size:           8
        .value_kind:     global_buffer
      - .actual_access:  read_only
        .address_space:  global
        .offset:         16
        .size:           8
        .value_kind:     global_buffer
      - .actual_access:  read_only
        .address_space:  global
        .offset:         24
        .size:           8
        .value_kind:     global_buffer
      - .actual_access:  read_only
        .address_space:  global
        .offset:         32
        .size:           8
        .value_kind:     global_buffer
      - .offset:         40
        .size:           1
        .value_kind:     by_value
      - .offset:         48
        .size:           8
        .value_kind:     by_value
      - .offset:         56
        .size:           8
        .value_kind:     by_value
      - .offset:         64
        .size:           8
        .value_kind:     by_value
    .group_segment_fixed_size: 256
    .kernarg_segment_align: 8
    .kernarg_segment_size: 72
    .language:       OpenCL C
    .language_version:
      - 2
      - 0
    .max_flat_workgroup_size: 1024
    .name:           _Z32nll_loss_forward_reduce2d_kernelI6__halfS0_iLi64EEvPT_S2_PKS1_PKT1_S4_blll
    .private_segment_fixed_size: 0
    .sgpr_count:     26
    .sgpr_spill_count: 0
    .symbol:         _Z32nll_loss_forward_reduce2d_kernelI6__halfS0_iLi64EEvPT_S2_PKS1_PKT1_S4_blll.kd
    .uniform_work_group_size: 1
    .uses_dynamic_stack: false
    .vgpr_count:     20
    .vgpr_spill_count: 0
    .wavefront_size: 32
    .workgroup_processor_mode: 1
  - .args:
      - .actual_access:  write_only
        .address_space:  global
        .offset:         0
        .size:           8
        .value_kind:     global_buffer
      - .actual_access:  write_only
        .address_space:  global
        .offset:         8
        .size:           8
        .value_kind:     global_buffer
      - .actual_access:  read_only
        .address_space:  global
        .offset:         16
        .size:           8
        .value_kind:     global_buffer
      - .actual_access:  read_only
        .address_space:  global
        .offset:         24
        .size:           8
        .value_kind:     global_buffer
      - .actual_access:  read_only
        .address_space:  global
        .offset:         32
        .size:           8
        .value_kind:     global_buffer
      - .offset:         40
        .size:           1
        .value_kind:     by_value
      - .offset:         48
        .size:           8
        .value_kind:     by_value
      - .offset:         56
        .size:           8
        .value_kind:     by_value
      - .offset:         64
        .size:           8
        .value_kind:     by_value
    .group_segment_fixed_size: 512
    .kernarg_segment_align: 8
    .kernarg_segment_size: 72
    .language:       OpenCL C
    .language_version:
      - 2
      - 0
    .max_flat_workgroup_size: 1024
    .name:           _Z32nll_loss_forward_reduce2d_kernelI6__halfS0_iLi128EEvPT_S2_PKS1_PKT1_S4_blll
    .private_segment_fixed_size: 0
    .sgpr_count:     26
    .sgpr_spill_count: 0
    .symbol:         _Z32nll_loss_forward_reduce2d_kernelI6__halfS0_iLi128EEvPT_S2_PKS1_PKT1_S4_blll.kd
    .uniform_work_group_size: 1
    .uses_dynamic_stack: false
    .vgpr_count:     19
    .vgpr_spill_count: 0
    .wavefront_size: 32
    .workgroup_processor_mode: 1
  - .args:
      - .actual_access:  write_only
        .address_space:  global
        .offset:         0
        .size:           8
        .value_kind:     global_buffer
      - .actual_access:  write_only
        .address_space:  global
        .offset:         8
        .size:           8
        .value_kind:     global_buffer
      - .actual_access:  read_only
        .address_space:  global
        .offset:         16
        .size:           8
        .value_kind:     global_buffer
      - .actual_access:  read_only
        .address_space:  global
        .offset:         24
        .size:           8
        .value_kind:     global_buffer
      - .actual_access:  read_only
        .address_space:  global
        .offset:         32
        .size:           8
        .value_kind:     global_buffer
      - .offset:         40
        .size:           1
        .value_kind:     by_value
      - .offset:         48
        .size:           8
        .value_kind:     by_value
      - .offset:         56
        .size:           8
        .value_kind:     by_value
      - .offset:         64
        .size:           8
        .value_kind:     by_value
    .group_segment_fixed_size: 1024
    .kernarg_segment_align: 8
    .kernarg_segment_size: 72
    .language:       OpenCL C
    .language_version:
      - 2
      - 0
    .max_flat_workgroup_size: 1024
    .name:           _Z32nll_loss_forward_reduce2d_kernelI6__halfS0_iLi256EEvPT_S2_PKS1_PKT1_S4_blll
    .private_segment_fixed_size: 0
    .sgpr_count:     26
    .sgpr_spill_count: 0
    .symbol:         _Z32nll_loss_forward_reduce2d_kernelI6__halfS0_iLi256EEvPT_S2_PKS1_PKT1_S4_blll.kd
    .uniform_work_group_size: 1
    .uses_dynamic_stack: false
    .vgpr_count:     19
    .vgpr_spill_count: 0
    .wavefront_size: 32
    .workgroup_processor_mode: 1
  - .args:
      - .actual_access:  write_only
        .address_space:  global
        .offset:         0
        .size:           8
        .value_kind:     global_buffer
      - .actual_access:  write_only
        .address_space:  global
        .offset:         8
        .size:           8
        .value_kind:     global_buffer
      - .actual_access:  read_only
        .address_space:  global
        .offset:         16
        .size:           8
        .value_kind:     global_buffer
      - .actual_access:  read_only
        .address_space:  global
        .offset:         24
        .size:           8
        .value_kind:     global_buffer
      - .actual_access:  read_only
        .address_space:  global
        .offset:         32
        .size:           8
        .value_kind:     global_buffer
      - .offset:         40
        .size:           1
        .value_kind:     by_value
      - .offset:         48
        .size:           8
        .value_kind:     by_value
      - .offset:         56
        .size:           8
        .value_kind:     by_value
      - .offset:         64
        .size:           8
        .value_kind:     by_value
    .group_segment_fixed_size: 2048
    .kernarg_segment_align: 8
    .kernarg_segment_size: 72
    .language:       OpenCL C
    .language_version:
      - 2
      - 0
    .max_flat_workgroup_size: 1024
    .name:           _Z32nll_loss_forward_reduce2d_kernelI6__halfS0_iLi512EEvPT_S2_PKS1_PKT1_S4_blll
    .private_segment_fixed_size: 0
    .sgpr_count:     26
    .sgpr_spill_count: 0
    .symbol:         _Z32nll_loss_forward_reduce2d_kernelI6__halfS0_iLi512EEvPT_S2_PKS1_PKT1_S4_blll.kd
    .uniform_work_group_size: 1
    .uses_dynamic_stack: false
    .vgpr_count:     19
    .vgpr_spill_count: 0
    .wavefront_size: 32
    .workgroup_processor_mode: 1
  - .args:
      - .actual_access:  write_only
        .address_space:  global
        .offset:         0
        .size:           8
        .value_kind:     global_buffer
      - .actual_access:  write_only
        .address_space:  global
        .offset:         8
        .size:           8
        .value_kind:     global_buffer
      - .actual_access:  read_only
        .address_space:  global
        .offset:         16
        .size:           8
        .value_kind:     global_buffer
      - .actual_access:  read_only
        .address_space:  global
        .offset:         24
        .size:           8
        .value_kind:     global_buffer
      - .actual_access:  read_only
        .address_space:  global
        .offset:         32
        .size:           8
        .value_kind:     global_buffer
      - .offset:         40
        .size:           1
        .value_kind:     by_value
      - .offset:         48
        .size:           8
        .value_kind:     by_value
      - .offset:         56
        .size:           8
        .value_kind:     by_value
      - .offset:         64
        .size:           8
        .value_kind:     by_value
    .group_segment_fixed_size: 4096
    .kernarg_segment_align: 8
    .kernarg_segment_size: 72
    .language:       OpenCL C
    .language_version:
      - 2
      - 0
    .max_flat_workgroup_size: 1024
    .name:           _Z32nll_loss_forward_reduce2d_kernelI6__halfS0_iLi1024EEvPT_S2_PKS1_PKT1_S4_blll
    .private_segment_fixed_size: 0
    .sgpr_count:     26
    .sgpr_spill_count: 0
    .symbol:         _Z32nll_loss_forward_reduce2d_kernelI6__halfS0_iLi1024EEvPT_S2_PKS1_PKT1_S4_blll.kd
    .uniform_work_group_size: 1
    .uses_dynamic_stack: false
    .vgpr_count:     19
    .vgpr_spill_count: 0
    .wavefront_size: 32
    .workgroup_processor_mode: 1
amdhsa.target:   amdgcn-amd-amdhsa--gfx1100
amdhsa.version:
  - 1
  - 2
...

	.end_amdgpu_metadata
